;; amdgpu-corpus repo=ROCm/rocFFT kind=compiled arch=gfx906 opt=O3
	.text
	.amdgcn_target "amdgcn-amd-amdhsa--gfx906"
	.amdhsa_code_object_version 6
	.protected	fft_rtc_back_len1092_factors_2_2_13_7_3_wgs_52_tpt_52_halfLds_sp_ip_CI_unitstride_sbrr_C2R_dirReg ; -- Begin function fft_rtc_back_len1092_factors_2_2_13_7_3_wgs_52_tpt_52_halfLds_sp_ip_CI_unitstride_sbrr_C2R_dirReg
	.globl	fft_rtc_back_len1092_factors_2_2_13_7_3_wgs_52_tpt_52_halfLds_sp_ip_CI_unitstride_sbrr_C2R_dirReg
	.p2align	8
	.type	fft_rtc_back_len1092_factors_2_2_13_7_3_wgs_52_tpt_52_halfLds_sp_ip_CI_unitstride_sbrr_C2R_dirReg,@function
fft_rtc_back_len1092_factors_2_2_13_7_3_wgs_52_tpt_52_halfLds_sp_ip_CI_unitstride_sbrr_C2R_dirReg: ; @fft_rtc_back_len1092_factors_2_2_13_7_3_wgs_52_tpt_52_halfLds_sp_ip_CI_unitstride_sbrr_C2R_dirReg
; %bb.0:
	s_load_dwordx2 s[12:13], s[4:5], 0x50
	s_load_dwordx4 s[8:11], s[4:5], 0x0
	s_load_dwordx2 s[2:3], s[4:5], 0x18
	v_mul_u32_u24_e32 v1, 0x4ed, v0
	v_add_u32_sdwa v5, s6, v1 dst_sel:DWORD dst_unused:UNUSED_PAD src0_sel:DWORD src1_sel:WORD_1
	v_mov_b32_e32 v3, 0
	s_waitcnt lgkmcnt(0)
	v_cmp_lt_u64_e64 s[0:1], s[10:11], 2
	v_mov_b32_e32 v1, 0
	v_mov_b32_e32 v6, v3
	s_and_b64 vcc, exec, s[0:1]
	v_mov_b32_e32 v2, 0
	s_cbranch_vccnz .LBB0_8
; %bb.1:
	s_load_dwordx2 s[0:1], s[4:5], 0x10
	s_add_u32 s6, s2, 8
	s_addc_u32 s7, s3, 0
	v_mov_b32_e32 v1, 0
	v_mov_b32_e32 v2, 0
	s_waitcnt lgkmcnt(0)
	s_add_u32 s14, s0, 8
	s_addc_u32 s15, s1, 0
	s_mov_b64 s[16:17], 1
.LBB0_2:                                ; =>This Inner Loop Header: Depth=1
	s_load_dwordx2 s[18:19], s[14:15], 0x0
                                        ; implicit-def: $vgpr7_vgpr8
	s_waitcnt lgkmcnt(0)
	v_or_b32_e32 v4, s19, v6
	v_cmp_ne_u64_e32 vcc, 0, v[3:4]
	s_and_saveexec_b64 s[0:1], vcc
	s_xor_b64 s[20:21], exec, s[0:1]
	s_cbranch_execz .LBB0_4
; %bb.3:                                ;   in Loop: Header=BB0_2 Depth=1
	v_cvt_f32_u32_e32 v4, s18
	v_cvt_f32_u32_e32 v7, s19
	s_sub_u32 s0, 0, s18
	s_subb_u32 s1, 0, s19
	v_mac_f32_e32 v4, 0x4f800000, v7
	v_rcp_f32_e32 v4, v4
	v_mul_f32_e32 v4, 0x5f7ffffc, v4
	v_mul_f32_e32 v7, 0x2f800000, v4
	v_trunc_f32_e32 v7, v7
	v_mac_f32_e32 v4, 0xcf800000, v7
	v_cvt_u32_f32_e32 v7, v7
	v_cvt_u32_f32_e32 v4, v4
	v_mul_lo_u32 v8, s0, v7
	v_mul_hi_u32 v9, s0, v4
	v_mul_lo_u32 v11, s1, v4
	v_mul_lo_u32 v10, s0, v4
	v_add_u32_e32 v8, v9, v8
	v_add_u32_e32 v8, v8, v11
	v_mul_hi_u32 v9, v4, v10
	v_mul_lo_u32 v11, v4, v8
	v_mul_hi_u32 v13, v4, v8
	v_mul_hi_u32 v12, v7, v10
	v_mul_lo_u32 v10, v7, v10
	v_mul_hi_u32 v14, v7, v8
	v_add_co_u32_e32 v9, vcc, v9, v11
	v_addc_co_u32_e32 v11, vcc, 0, v13, vcc
	v_mul_lo_u32 v8, v7, v8
	v_add_co_u32_e32 v9, vcc, v9, v10
	v_addc_co_u32_e32 v9, vcc, v11, v12, vcc
	v_addc_co_u32_e32 v10, vcc, 0, v14, vcc
	v_add_co_u32_e32 v8, vcc, v9, v8
	v_addc_co_u32_e32 v9, vcc, 0, v10, vcc
	v_add_co_u32_e32 v4, vcc, v4, v8
	v_addc_co_u32_e32 v7, vcc, v7, v9, vcc
	v_mul_lo_u32 v8, s0, v7
	v_mul_hi_u32 v9, s0, v4
	v_mul_lo_u32 v10, s1, v4
	v_mul_lo_u32 v11, s0, v4
	v_add_u32_e32 v8, v9, v8
	v_add_u32_e32 v8, v8, v10
	v_mul_lo_u32 v12, v4, v8
	v_mul_hi_u32 v13, v4, v11
	v_mul_hi_u32 v14, v4, v8
	;; [unrolled: 1-line block ×3, first 2 shown]
	v_mul_lo_u32 v11, v7, v11
	v_mul_hi_u32 v9, v7, v8
	v_add_co_u32_e32 v12, vcc, v13, v12
	v_addc_co_u32_e32 v13, vcc, 0, v14, vcc
	v_mul_lo_u32 v8, v7, v8
	v_add_co_u32_e32 v11, vcc, v12, v11
	v_addc_co_u32_e32 v10, vcc, v13, v10, vcc
	v_addc_co_u32_e32 v9, vcc, 0, v9, vcc
	v_add_co_u32_e32 v8, vcc, v10, v8
	v_addc_co_u32_e32 v9, vcc, 0, v9, vcc
	v_add_co_u32_e32 v4, vcc, v4, v8
	v_addc_co_u32_e32 v9, vcc, v7, v9, vcc
	v_mad_u64_u32 v[7:8], s[0:1], v5, v9, 0
	v_mul_hi_u32 v10, v5, v4
	v_add_co_u32_e32 v11, vcc, v10, v7
	v_addc_co_u32_e32 v12, vcc, 0, v8, vcc
	v_mad_u64_u32 v[7:8], s[0:1], v6, v4, 0
	v_mad_u64_u32 v[9:10], s[0:1], v6, v9, 0
	v_add_co_u32_e32 v4, vcc, v11, v7
	v_addc_co_u32_e32 v4, vcc, v12, v8, vcc
	v_addc_co_u32_e32 v7, vcc, 0, v10, vcc
	v_add_co_u32_e32 v4, vcc, v4, v9
	v_addc_co_u32_e32 v9, vcc, 0, v7, vcc
	v_mul_lo_u32 v10, s19, v4
	v_mul_lo_u32 v11, s18, v9
	v_mad_u64_u32 v[7:8], s[0:1], s18, v4, 0
	v_add3_u32 v8, v8, v11, v10
	v_sub_u32_e32 v10, v6, v8
	v_mov_b32_e32 v11, s19
	v_sub_co_u32_e32 v7, vcc, v5, v7
	v_subb_co_u32_e64 v10, s[0:1], v10, v11, vcc
	v_subrev_co_u32_e64 v11, s[0:1], s18, v7
	v_subbrev_co_u32_e64 v10, s[0:1], 0, v10, s[0:1]
	v_cmp_le_u32_e64 s[0:1], s19, v10
	v_cndmask_b32_e64 v12, 0, -1, s[0:1]
	v_cmp_le_u32_e64 s[0:1], s18, v11
	v_cndmask_b32_e64 v11, 0, -1, s[0:1]
	v_cmp_eq_u32_e64 s[0:1], s19, v10
	v_cndmask_b32_e64 v10, v12, v11, s[0:1]
	v_add_co_u32_e64 v11, s[0:1], 2, v4
	v_addc_co_u32_e64 v12, s[0:1], 0, v9, s[0:1]
	v_add_co_u32_e64 v13, s[0:1], 1, v4
	v_addc_co_u32_e64 v14, s[0:1], 0, v9, s[0:1]
	v_subb_co_u32_e32 v8, vcc, v6, v8, vcc
	v_cmp_ne_u32_e64 s[0:1], 0, v10
	v_cmp_le_u32_e32 vcc, s19, v8
	v_cndmask_b32_e64 v10, v14, v12, s[0:1]
	v_cndmask_b32_e64 v12, 0, -1, vcc
	v_cmp_le_u32_e32 vcc, s18, v7
	v_cndmask_b32_e64 v7, 0, -1, vcc
	v_cmp_eq_u32_e32 vcc, s19, v8
	v_cndmask_b32_e32 v7, v12, v7, vcc
	v_cmp_ne_u32_e32 vcc, 0, v7
	v_cndmask_b32_e64 v7, v13, v11, s[0:1]
	v_cndmask_b32_e32 v8, v9, v10, vcc
	v_cndmask_b32_e32 v7, v4, v7, vcc
.LBB0_4:                                ;   in Loop: Header=BB0_2 Depth=1
	s_andn2_saveexec_b64 s[0:1], s[20:21]
	s_cbranch_execz .LBB0_6
; %bb.5:                                ;   in Loop: Header=BB0_2 Depth=1
	v_cvt_f32_u32_e32 v4, s18
	s_sub_i32 s20, 0, s18
	v_rcp_iflag_f32_e32 v4, v4
	v_mul_f32_e32 v4, 0x4f7ffffe, v4
	v_cvt_u32_f32_e32 v4, v4
	v_mul_lo_u32 v7, s20, v4
	v_mul_hi_u32 v7, v4, v7
	v_add_u32_e32 v4, v4, v7
	v_mul_hi_u32 v4, v5, v4
	v_mul_lo_u32 v7, v4, s18
	v_add_u32_e32 v8, 1, v4
	v_sub_u32_e32 v7, v5, v7
	v_subrev_u32_e32 v9, s18, v7
	v_cmp_le_u32_e32 vcc, s18, v7
	v_cndmask_b32_e32 v7, v7, v9, vcc
	v_cndmask_b32_e32 v4, v4, v8, vcc
	v_add_u32_e32 v8, 1, v4
	v_cmp_le_u32_e32 vcc, s18, v7
	v_cndmask_b32_e32 v7, v4, v8, vcc
	v_mov_b32_e32 v8, v3
.LBB0_6:                                ;   in Loop: Header=BB0_2 Depth=1
	s_or_b64 exec, exec, s[0:1]
	v_mul_lo_u32 v4, v8, s18
	v_mul_lo_u32 v11, v7, s19
	v_mad_u64_u32 v[9:10], s[0:1], v7, s18, 0
	s_load_dwordx2 s[0:1], s[6:7], 0x0
	s_add_u32 s16, s16, 1
	v_add3_u32 v4, v10, v11, v4
	v_sub_co_u32_e32 v5, vcc, v5, v9
	v_subb_co_u32_e32 v4, vcc, v6, v4, vcc
	s_waitcnt lgkmcnt(0)
	v_mul_lo_u32 v4, s0, v4
	v_mul_lo_u32 v6, s1, v5
	v_mad_u64_u32 v[1:2], s[0:1], s0, v5, v[1:2]
	s_addc_u32 s17, s17, 0
	s_add_u32 s6, s6, 8
	v_add3_u32 v2, v6, v2, v4
	v_mov_b32_e32 v4, s10
	v_mov_b32_e32 v5, s11
	s_addc_u32 s7, s7, 0
	v_cmp_ge_u64_e32 vcc, s[16:17], v[4:5]
	s_add_u32 s14, s14, 8
	s_addc_u32 s15, s15, 0
	s_cbranch_vccnz .LBB0_9
; %bb.7:                                ;   in Loop: Header=BB0_2 Depth=1
	v_mov_b32_e32 v5, v7
	v_mov_b32_e32 v6, v8
	s_branch .LBB0_2
.LBB0_8:
	v_mov_b32_e32 v8, v6
	v_mov_b32_e32 v7, v5
.LBB0_9:
	s_lshl_b64 s[0:1], s[10:11], 3
	s_add_u32 s0, s2, s0
	s_addc_u32 s1, s3, s1
	s_load_dwordx2 s[2:3], s[0:1], 0x0
	s_load_dwordx2 s[6:7], s[4:5], 0x20
	s_waitcnt lgkmcnt(0)
	v_mad_u64_u32 v[1:2], s[0:1], s2, v7, v[1:2]
	v_mul_lo_u32 v3, s2, v8
	v_mul_lo_u32 v4, s3, v7
	s_mov_b32 s0, 0x4ec4ec5
	v_mul_hi_u32 v5, v0, s0
	v_cmp_gt_u64_e64 s[0:1], s[6:7], v[7:8]
	v_add3_u32 v2, v4, v2, v3
	v_lshlrev_b64 v[74:75], 3, v[1:2]
	v_mul_u32_u24_e32 v3, 52, v5
	v_sub_u32_e32 v72, v0, v3
	s_and_saveexec_b64 s[2:3], s[0:1]
	s_cbranch_execz .LBB0_13
; %bb.10:
	v_mov_b32_e32 v73, 0
	v_mov_b32_e32 v0, s13
	v_add_co_u32_e32 v1, vcc, s12, v74
	v_lshlrev_b64 v[2:3], 3, v[72:73]
	v_addc_co_u32_e32 v0, vcc, v0, v75, vcc
	v_add_co_u32_e32 v2, vcc, v1, v2
	v_addc_co_u32_e32 v3, vcc, v0, v3, vcc
	s_movk_i32 s4, 0x1000
	v_or_b32_e32 v38, 0x340, v72
	v_mov_b32_e32 v39, v73
	v_add_co_u32_e32 v20, vcc, s4, v2
	v_lshlrev_b64 v[38:39], 3, v[38:39]
	v_addc_co_u32_e32 v21, vcc, 0, v3, vcc
	v_add_co_u32_e32 v38, vcc, v1, v38
	global_load_dwordx2 v[4:5], v[2:3], off
	global_load_dwordx2 v[6:7], v[2:3], off offset:416
	global_load_dwordx2 v[8:9], v[2:3], off offset:832
	;; [unrolled: 1-line block ×15, first 2 shown]
	v_addc_co_u32_e32 v39, vcc, v0, v39, vcc
	global_load_dwordx2 v[40:41], v[20:21], off offset:2976
	global_load_dwordx2 v[42:43], v[20:21], off offset:3392
	global_load_dwordx2 v[44:45], v[38:39], off
	global_load_dwordx2 v[46:47], v[20:21], off offset:3808
	v_add_co_u32_e32 v2, vcc, 0x2000, v2
	v_addc_co_u32_e32 v3, vcc, 0, v3, vcc
	global_load_dwordx2 v[2:3], v[2:3], off offset:128
	v_lshl_add_u32 v20, v72, 3, 0
	v_cmp_eq_u32_e32 vcc, 51, v72
	v_add_u32_e32 v21, 0x400, v20
	v_add_u32_e32 v38, 0x800, v20
	;; [unrolled: 1-line block ×5, first 2 shown]
	s_waitcnt vmcnt(19)
	ds_write2_b64 v20, v[4:5], v[6:7] offset1:52
	s_waitcnt vmcnt(17)
	ds_write2_b64 v20, v[8:9], v[10:11] offset0:104 offset1:156
	s_waitcnt vmcnt(15)
	ds_write2_b64 v21, v[12:13], v[14:15] offset0:80 offset1:132
	;; [unrolled: 2-line block ×9, first 2 shown]
	s_waitcnt vmcnt(0)
	ds_write_b64 v20, v[2:3] offset:8320
	s_and_saveexec_b64 s[4:5], vcc
	s_cbranch_execz .LBB0_12
; %bb.11:
	v_add_co_u32_e32 v1, vcc, 0x2000, v1
	v_addc_co_u32_e32 v2, vcc, 0, v0, vcc
	global_load_dwordx2 v[0:1], v[1:2], off offset:544
	v_mov_b32_e32 v72, 51
	s_waitcnt vmcnt(0)
	ds_write_b64 v73, v[0:1] offset:8736
.LBB0_12:
	s_or_b64 exec, exec, s[4:5]
.LBB0_13:
	s_or_b64 exec, exec, s[2:3]
	v_lshlrev_b32_e32 v0, 3, v72
	v_add_u32_e32 v89, 0, v0
	s_waitcnt lgkmcnt(0)
	; wave barrier
	s_waitcnt lgkmcnt(0)
	v_sub_u32_e32 v4, 0, v0
	ds_read_b32 v5, v89
	ds_read_b32 v6, v4 offset:8736
	s_add_u32 s4, s8, 0x2210
	s_addc_u32 s5, s9, 0
	v_cmp_ne_u32_e32 vcc, 0, v72
                                        ; implicit-def: $vgpr0_vgpr1
	s_waitcnt lgkmcnt(0)
	v_add_f32_e32 v2, v6, v5
	v_sub_f32_e32 v3, v5, v6
	s_and_saveexec_b64 s[2:3], vcc
	s_xor_b64 s[2:3], exec, s[2:3]
	s_cbranch_execz .LBB0_15
; %bb.14:
	v_mov_b32_e32 v73, 0
	v_lshlrev_b64 v[0:1], 3, v[72:73]
	v_mov_b32_e32 v2, s5
	v_add_co_u32_e32 v0, vcc, s4, v0
	v_addc_co_u32_e32 v1, vcc, v2, v1, vcc
	global_load_dwordx2 v[0:1], v[0:1], off
	ds_read_b32 v2, v4 offset:8740
	ds_read_b32 v3, v89 offset:4
	v_add_f32_e32 v7, v6, v5
	v_sub_f32_e32 v8, v5, v6
	s_waitcnt lgkmcnt(0)
	v_add_f32_e32 v9, v2, v3
	v_sub_f32_e32 v2, v3, v2
	s_waitcnt vmcnt(0)
	v_fma_f32 v10, v8, v1, v7
	v_fma_f32 v3, v9, v1, v2
	v_fma_f32 v5, -v8, v1, v7
	v_fma_f32 v6, v9, v1, -v2
	v_fma_f32 v2, -v0, v9, v10
	v_fmac_f32_e32 v3, v8, v0
	v_fmac_f32_e32 v5, v0, v9
	;; [unrolled: 1-line block ×3, first 2 shown]
	v_mov_b32_e32 v0, v72
	ds_write_b64 v4, v[5:6] offset:8736
	v_mov_b32_e32 v1, v73
.LBB0_15:
	s_andn2_saveexec_b64 s[2:3], s[2:3]
	s_cbranch_execz .LBB0_17
; %bb.16:
	v_mov_b32_e32 v7, 0
	ds_read_b64 v[0:1], v7 offset:4368
	s_waitcnt lgkmcnt(0)
	v_add_f32_e32 v5, v0, v0
	v_mul_f32_e32 v6, -2.0, v1
	v_mov_b32_e32 v0, 0
	v_mov_b32_e32 v1, 0
	ds_write_b64 v7, v[5:6] offset:4368
.LBB0_17:
	s_or_b64 exec, exec, s[2:3]
	v_lshlrev_b64 v[0:1], 3, v[0:1]
	v_mov_b32_e32 v5, s5
	v_add_co_u32_e32 v0, vcc, s4, v0
	v_addc_co_u32_e32 v1, vcc, v5, v1, vcc
	global_load_dwordx2 v[5:6], v[0:1], off offset:416
	global_load_dwordx2 v[7:8], v[0:1], off offset:832
	;; [unrolled: 1-line block ×4, first 2 shown]
	ds_write_b64 v89, v[2:3]
	ds_read_b64 v[2:3], v89 offset:416
	ds_read_b64 v[13:14], v4 offset:8320
	global_load_dwordx2 v[15:16], v[0:1], off offset:2080
	v_cmp_gt_u32_e64 s[2:3], 26, v72
	s_waitcnt lgkmcnt(0)
	v_add_f32_e32 v17, v2, v13
	v_add_f32_e32 v18, v14, v3
	v_sub_f32_e32 v19, v2, v13
	v_sub_f32_e32 v13, v3, v14
	s_waitcnt vmcnt(4)
	v_fma_f32 v20, v19, v6, v17
	v_fma_f32 v14, v18, v6, v13
	v_fma_f32 v2, -v19, v6, v17
	v_fma_f32 v3, v18, v6, -v13
	v_fma_f32 v13, -v5, v18, v20
	v_fmac_f32_e32 v14, v19, v5
	v_fmac_f32_e32 v2, v5, v18
	v_fmac_f32_e32 v3, v19, v5
	ds_write_b64 v89, v[13:14] offset:416
	ds_write_b64 v4, v[2:3] offset:8320
	ds_read_b64 v[2:3], v89 offset:832
	ds_read_b64 v[5:6], v4 offset:7904
	global_load_dwordx2 v[13:14], v[0:1], off offset:2496
	s_waitcnt lgkmcnt(0)
	v_add_f32_e32 v17, v2, v5
	v_add_f32_e32 v18, v6, v3
	v_sub_f32_e32 v19, v2, v5
	v_sub_f32_e32 v2, v3, v6
	s_waitcnt vmcnt(4)
	v_fma_f32 v20, v19, v8, v17
	v_fma_f32 v3, v18, v8, v2
	v_fma_f32 v5, -v19, v8, v17
	v_fma_f32 v6, v18, v8, -v2
	v_fma_f32 v2, -v7, v18, v20
	v_fmac_f32_e32 v3, v19, v7
	v_fmac_f32_e32 v5, v7, v18
	v_fmac_f32_e32 v6, v19, v7
	ds_write_b64 v89, v[2:3] offset:832
	ds_write_b64 v4, v[5:6] offset:7904
	ds_read_b64 v[2:3], v89 offset:1248
	ds_read_b64 v[5:6], v4 offset:7488
	global_load_dwordx2 v[7:8], v[0:1], off offset:2912
	;; [unrolled: 19-line block ×4, first 2 shown]
	s_waitcnt lgkmcnt(0)
	v_add_f32_e32 v17, v2, v5
	v_add_f32_e32 v18, v6, v3
	v_sub_f32_e32 v19, v2, v5
	v_sub_f32_e32 v5, v3, v6
	s_waitcnt vmcnt(4)
	v_fma_f32 v20, v19, v16, v17
	v_fma_f32 v6, v18, v16, v5
	v_fma_f32 v2, -v19, v16, v17
	v_fma_f32 v3, v18, v16, -v5
	v_fma_f32 v5, -v15, v18, v20
	v_fmac_f32_e32 v6, v19, v15
	v_fmac_f32_e32 v2, v15, v18
	v_fmac_f32_e32 v3, v19, v15
	ds_write_b64 v89, v[5:6] offset:2080
	ds_write_b64 v4, v[2:3] offset:6656
	ds_read_b64 v[2:3], v89 offset:2496
	ds_read_b64 v[5:6], v4 offset:6240
	s_waitcnt lgkmcnt(0)
	v_add_f32_e32 v15, v2, v5
	v_add_f32_e32 v16, v6, v3
	v_sub_f32_e32 v17, v2, v5
	v_sub_f32_e32 v2, v3, v6
	s_waitcnt vmcnt(3)
	v_fma_f32 v18, v17, v14, v15
	v_fma_f32 v3, v16, v14, v2
	v_fma_f32 v5, -v17, v14, v15
	v_fma_f32 v6, v16, v14, -v2
	v_fma_f32 v2, -v13, v16, v18
	v_fmac_f32_e32 v3, v17, v13
	v_fmac_f32_e32 v5, v13, v16
	v_fmac_f32_e32 v6, v17, v13
	ds_write_b64 v89, v[2:3] offset:2496
	ds_write_b64 v4, v[5:6] offset:6240
	ds_read_b64 v[2:3], v89 offset:2912
	ds_read_b64 v[5:6], v4 offset:5824
	;; [unrolled: 18-line block ×4, first 2 shown]
	s_waitcnt lgkmcnt(0)
	v_add_f32_e32 v7, v2, v5
	v_add_f32_e32 v8, v6, v3
	v_sub_f32_e32 v9, v2, v5
	v_sub_f32_e32 v2, v3, v6
	s_waitcnt vmcnt(0)
	v_fma_f32 v10, v9, v12, v7
	v_fma_f32 v3, v8, v12, v2
	v_fma_f32 v5, -v9, v12, v7
	v_fma_f32 v6, v8, v12, -v2
	v_fma_f32 v2, -v11, v8, v10
	v_fmac_f32_e32 v3, v9, v11
	v_fmac_f32_e32 v5, v11, v8
	;; [unrolled: 1-line block ×3, first 2 shown]
	ds_write_b64 v89, v[2:3] offset:3744
	ds_write_b64 v4, v[5:6] offset:4992
	s_and_saveexec_b64 s[4:5], s[2:3]
	s_cbranch_execz .LBB0_19
; %bb.18:
	v_add_co_u32_e32 v0, vcc, 0x1000, v0
	v_addc_co_u32_e32 v1, vcc, 0, v1, vcc
	global_load_dwordx2 v[0:1], v[0:1], off offset:64
	ds_read_b64 v[2:3], v89 offset:4160
	ds_read_b64 v[5:6], v4 offset:4576
	s_waitcnt lgkmcnt(0)
	v_add_f32_e32 v7, v2, v5
	v_add_f32_e32 v8, v6, v3
	v_sub_f32_e32 v9, v2, v5
	v_sub_f32_e32 v3, v3, v6
	s_waitcnt vmcnt(0)
	v_fma_f32 v10, v9, v1, v7
	v_fma_f32 v2, v8, v1, v3
	v_fma_f32 v5, -v9, v1, v7
	v_fma_f32 v6, v8, v1, -v3
	v_fma_f32 v1, -v0, v8, v10
	v_fmac_f32_e32 v2, v9, v0
	v_fmac_f32_e32 v5, v0, v8
	;; [unrolled: 1-line block ×3, first 2 shown]
	ds_write_b64 v89, v[1:2] offset:4160
	ds_write_b64 v4, v[5:6] offset:4576
.LBB0_19:
	s_or_b64 exec, exec, s[4:5]
	v_add_u32_e32 v14, 0x1000, v89
	s_waitcnt lgkmcnt(0)
	; wave barrier
	s_waitcnt lgkmcnt(0)
	s_waitcnt lgkmcnt(0)
	; wave barrier
	s_waitcnt lgkmcnt(0)
	ds_read2_b64 v[0:3], v89 offset1:52
	ds_read2_b64 v[6:9], v14 offset0:8 offset1:34
	v_add_u32_e32 v10, 0x1c00, v89
	v_lshl_add_u32 v12, v72, 4, 0
	v_add_u32_e32 v16, 0x400, v89
	v_add_u32_e32 v38, 0x1800, v89
	s_waitcnt lgkmcnt(0)
	v_sub_f32_e32 v4, v0, v8
	v_sub_f32_e32 v5, v1, v9
	v_fma_f32 v0, v0, 2.0, -v4
	v_fma_f32 v1, v1, 2.0, -v5
	v_add_u32_e32 v15, 0x800, v89
	ds_read2_b64 v[8:11], v10 offset0:118 offset1:170
	ds_read2_b64 v[17:20], v14 offset0:86 offset1:138
	;; [unrolled: 1-line block ×9, first 2 shown]
	s_waitcnt lgkmcnt(0)
	; wave barrier
	s_waitcnt lgkmcnt(0)
	ds_write2_b64 v12, v[0:1], v[4:5] offset1:1
	v_sub_f32_e32 v0, v2, v17
	v_sub_f32_e32 v1, v3, v18
	v_add_u32_e32 v77, 52, v72
	v_fma_f32 v2, v2, 2.0, -v0
	v_fma_f32 v3, v3, 2.0, -v1
	v_lshl_add_u32 v4, v77, 4, 0
	ds_write2_b64 v4, v[2:3], v[0:1] offset1:1
	v_sub_f32_e32 v0, v21, v19
	v_sub_f32_e32 v1, v22, v20
	v_add_u32_e32 v73, 0x68, v72
	v_fma_f32 v2, v21, 2.0, -v0
	v_fma_f32 v3, v22, 2.0, -v1
	v_lshl_add_u32 v4, v73, 4, 0
	;; [unrolled: 7-line block ×9, first 2 shown]
	ds_write2_b64 v12, v[8:9], v[0:1] offset1:1
	v_sub_f32_e32 v0, v6, v10
	v_sub_f32_e32 v1, v7, v11
	v_fma_f32 v42, v6, 2.0, -v0
	v_fma_f32 v43, v7, 2.0, -v1
	v_add_u32_e32 v44, 0x208, v72
	s_and_saveexec_b64 s[4:5], s[2:3]
	s_cbranch_execz .LBB0_21
; %bb.20:
	v_lshl_add_u32 v6, v44, 4, 0
	ds_write2_b64 v6, v[42:43], v[0:1] offset1:1
.LBB0_21:
	s_or_b64 exec, exec, s[4:5]
	v_lshlrev_b32_e32 v81, 1, v2
	v_lshlrev_b32_e32 v80, 1, v3
	;; [unrolled: 1-line block ×4, first 2 shown]
	s_waitcnt lgkmcnt(0)
	; wave barrier
	s_waitcnt lgkmcnt(0)
	ds_read2_b64 v[2:5], v89 offset1:52
	ds_read2_b64 v[10:13], v14 offset0:34 offset1:86
	ds_read2_b64 v[6:9], v89 offset0:104 offset1:156
	;; [unrolled: 1-line block ×4, first 2 shown]
	v_add_u32_e32 v14, 0x1400, v89
	ds_read2_b64 v[30:33], v14 offset0:114 offset1:166
	ds_read2_b64 v[22:25], v15 offset0:56 offset1:108
	;; [unrolled: 1-line block ×5, first 2 shown]
	v_lshlrev_b32_e32 v76, 1, v72
	v_lshlrev_b32_e32 v82, 1, v77
	;; [unrolled: 1-line block ×6, first 2 shown]
	s_and_saveexec_b64 s[4:5], s[2:3]
	s_cbranch_execz .LBB0_23
; %bb.22:
	ds_read_b64 v[42:43], v89 offset:4160
	ds_read_b64 v[0:1], v89 offset:8528
.LBB0_23:
	s_or_b64 exec, exec, s[4:5]
	v_and_b32_e32 v48, 1, v72
	v_lshlrev_b32_e32 v49, 3, v48
	global_load_dwordx2 v[49:50], v49, s[8:9]
	s_movk_i32 s4, 0x7c
	s_movk_i32 s5, 0xfc
	v_and_or_b32 v51, v76, s4, v48
	v_and_or_b32 v52, v82, s5, v48
	v_lshl_add_u32 v51, v51, 3, 0
	s_movk_i32 s4, 0x1fc
	s_waitcnt lgkmcnt(0)
	; wave barrier
	s_waitcnt lgkmcnt(0)
	v_lshl_add_u32 v52, v52, 3, 0
	s_movk_i32 s5, 0x2fc
	s_waitcnt vmcnt(0)
	v_mul_f32_e32 v53, v50, v11
	v_mul_f32_e32 v54, v50, v10
	;; [unrolled: 1-line block ×5, first 2 shown]
	v_fmac_f32_e32 v53, v49, v10
	v_fma_f32 v11, v49, v11, -v54
	v_mul_f32_e32 v57, v50, v27
	v_mul_f32_e32 v58, v50, v26
	v_fmac_f32_e32 v55, v49, v12
	v_fma_f32 v12, v49, v13, -v56
	v_fmac_f32_e32 v67, v49, v36
	v_sub_f32_e32 v10, v2, v53
	v_sub_f32_e32 v11, v3, v11
	v_mul_f32_e32 v59, v50, v29
	v_mul_f32_e32 v60, v50, v28
	;; [unrolled: 1-line block ×3, first 2 shown]
	v_fmac_f32_e32 v57, v49, v26
	v_fma_f32 v13, v49, v27, -v58
	v_sub_f32_e32 v26, v4, v55
	v_sub_f32_e32 v27, v5, v12
	;; [unrolled: 1-line block ×3, first 2 shown]
	v_fma_f32 v2, v2, 2.0, -v10
	v_fma_f32 v3, v3, 2.0, -v11
	v_fmac_f32_e32 v59, v49, v28
	v_fma_f32 v54, v49, v29, -v60
	v_fma_f32 v36, v49, v37, -v68
	v_sub_f32_e32 v28, v6, v57
	v_sub_f32_e32 v29, v7, v13
	v_fma_f32 v4, v4, 2.0, -v26
	v_fma_f32 v5, v5, 2.0, -v27
	ds_write2_b64 v51, v[2:3], v[10:11] offset1:2
	ds_write2_b64 v52, v[4:5], v[26:27] offset1:2
	v_fma_f32 v2, v24, 2.0, -v12
	v_and_or_b32 v24, v84, s4, v48
	v_mul_f32_e32 v61, v50, v31
	v_mul_f32_e32 v62, v50, v30
	v_sub_f32_e32 v13, v25, v36
	v_fma_f32 v36, v6, 2.0, -v28
	v_fma_f32 v37, v7, 2.0, -v29
	v_lshl_add_u32 v24, v24, 3, 0
	v_mul_f32_e32 v69, v50, v39
	v_mul_f32_e32 v70, v50, v38
	v_fmac_f32_e32 v61, v49, v30
	v_fma_f32 v56, v49, v31, -v62
	v_sub_f32_e32 v30, v8, v59
	v_sub_f32_e32 v31, v9, v54
	ds_write2_b64 v24, v[36:37], v[28:29] offset1:2
	v_and_or_b32 v24, v81, s4, v48
	v_mul_f32_e32 v63, v50, v33
	v_mul_f32_e32 v64, v50, v32
	v_fmac_f32_e32 v69, v49, v38
	v_fma_f32 v62, v49, v39, -v70
	v_fma_f32 v38, v8, 2.0, -v30
	v_fma_f32 v39, v9, 2.0, -v31
	v_lshl_add_u32 v24, v24, 3, 0
	s_movk_i32 s4, 0x3fc
	v_fmac_f32_e32 v63, v49, v32
	v_fma_f32 v58, v49, v33, -v64
	v_sub_f32_e32 v32, v18, v61
	v_sub_f32_e32 v33, v19, v56
	ds_write2_b64 v24, v[38:39], v[30:31] offset1:2
	v_and_or_b32 v24, v80, s4, v48
	v_mul_f32_e32 v65, v50, v35
	v_mul_f32_e32 v66, v50, v34
	v_fma_f32 v18, v18, 2.0, -v32
	v_fma_f32 v19, v19, 2.0, -v33
	v_lshl_add_u32 v24, v24, 3, 0
	v_fmac_f32_e32 v65, v49, v34
	v_fma_f32 v60, v49, v35, -v66
	v_sub_f32_e32 v34, v20, v63
	v_sub_f32_e32 v35, v21, v58
	ds_write2_b64 v24, v[18:19], v[32:33] offset1:2
	v_and_or_b32 v18, v79, s5, v48
	v_mul_f32_e32 v71, v50, v41
	v_mul_f32_e32 v83, v50, v40
	;; [unrolled: 1-line block ×4, first 2 shown]
	v_fma_f32 v20, v20, 2.0, -v34
	v_fma_f32 v21, v21, 2.0, -v35
	v_lshl_add_u32 v18, v18, 3, 0
	v_fmac_f32_e32 v71, v49, v40
	v_fma_f32 v40, v49, v41, -v83
	v_fmac_f32_e32 v85, v0, v49
	v_fma_f32 v41, v1, v49, -v50
	v_sub_f32_e32 v0, v22, v65
	v_sub_f32_e32 v1, v23, v60
	ds_write2_b64 v18, v[20:21], v[34:35] offset1:2
	v_and_or_b32 v18, v78, s5, v48
	v_fma_f32 v22, v22, 2.0, -v0
	v_fma_f32 v23, v23, 2.0, -v1
	v_lshl_add_u32 v18, v18, 3, 0
	ds_write2_b64 v18, v[22:23], v[0:1] offset1:2
	v_and_or_b32 v18, v47, s4, v48
	v_fma_f32 v3, v25, 2.0, -v13
	v_lshl_add_u32 v18, v18, 3, 0
	v_sub_f32_e32 v8, v14, v69
	v_sub_f32_e32 v9, v15, v62
	ds_write2_b64 v18, v[2:3], v[12:13] offset1:2
	v_and_or_b32 v18, v46, s4, v48
	v_sub_f32_e32 v4, v16, v71
	v_sub_f32_e32 v5, v17, v40
	v_fma_f32 v14, v14, 2.0, -v8
	v_fma_f32 v15, v15, 2.0, -v9
	v_lshl_add_u32 v18, v18, 3, 0
	s_movk_i32 s4, 0x7fc
	v_fma_f32 v10, v16, 2.0, -v4
	v_fma_f32 v11, v17, 2.0, -v5
	v_sub_f32_e32 v16, v42, v85
	v_sub_f32_e32 v17, v43, v41
	ds_write2_b64 v18, v[14:15], v[8:9] offset1:2
	v_and_or_b32 v18, v45, s4, v48
	v_fma_f32 v6, v42, 2.0, -v16
	v_fma_f32 v7, v43, 2.0, -v17
	v_lshl_add_u32 v18, v18, 3, 0
	ds_write2_b64 v18, v[10:11], v[4:5] offset1:2
	s_and_saveexec_b64 s[4:5], s[2:3]
	s_cbranch_execz .LBB0_25
; %bb.24:
	v_lshlrev_b32_e32 v18, 1, v44
	s_movk_i32 s2, 0x47c
	v_and_or_b32 v18, v18, s2, v48
	v_lshl_add_u32 v18, v18, 3, 0
	ds_write2_b64 v18, v[6:7], v[16:17] offset1:2
.LBB0_25:
	s_or_b64 exec, exec, s[4:5]
	v_add_u32_e32 v19, 0xc00, v89
	s_waitcnt lgkmcnt(0)
	; wave barrier
	s_waitcnt lgkmcnt(0)
	ds_read2_b64 v[48:51], v89 offset1:84
	ds_read2_b64 v[68:71], v89 offset0:168 offset1:252
	v_add_u32_e32 v18, 0x800, v89
	ds_read2_b64 v[56:59], v19 offset0:120 offset1:204
	v_add_u32_e32 v19, 0x1000, v89
	v_add_u32_e32 v20, 0x1800, v89
	ds_read2_b64 v[52:55], v18 offset0:80 offset1:164
	ds_read2_b64 v[60:63], v19 offset0:160 offset1:244
	;; [unrolled: 1-line block ×3, first 2 shown]
	ds_read_b64 v[87:88], v89 offset:8064
	v_cmp_gt_u32_e32 vcc, 32, v72
                                        ; implicit-def: $vgpr86
                                        ; implicit-def: $vgpr23
	s_and_saveexec_b64 s[2:3], vcc
	s_cbranch_execz .LBB0_27
; %bb.26:
	v_add_u32_e32 v4, 0x400, v89
	v_add_u32_e32 v16, 0x1400, v89
	ds_read2_b64 v[0:3], v89 offset0:52 offset1:136
	ds_read2_b64 v[12:15], v4 offset0:92 offset1:176
	;; [unrolled: 1-line block ×6, first 2 shown]
	ds_read_b64 v[85:86], v89 offset:8480
.LBB0_27:
	s_or_b64 exec, exec, s[2:3]
	v_and_b32_e32 v83, 3, v72
	v_mul_u32_u24_e32 v24, 12, v83
	v_lshlrev_b32_e32 v90, 3, v24
	global_load_dwordx4 v[36:39], v90, s[8:9] offset:16
	global_load_dwordx4 v[32:35], v90, s[8:9] offset:32
	;; [unrolled: 1-line block ×6, first 2 shown]
	s_mov_b32 s4, 0x3f62ad3f
	s_mov_b32 s5, 0x3f116cb1
	;; [unrolled: 1-line block ×6, first 2 shown]
	s_waitcnt lgkmcnt(0)
	; wave barrier
	s_waitcnt vmcnt(5) lgkmcnt(0)
	v_mul_f32_e32 v90, v37, v51
	v_mul_f32_e32 v91, v37, v50
	s_waitcnt vmcnt(3)
	v_mul_f32_e32 v98, v25, v55
	s_waitcnt vmcnt(2)
	v_mul_f32_e32 v103, v29, v58
	v_mul_f32_e32 v99, v25, v54
	s_waitcnt vmcnt(0)
	v_mul_f32_e32 v113, v87, v47
	v_mul_f32_e32 v100, v27, v57
	;; [unrolled: 1-line block ×4, first 2 shown]
	v_fmac_f32_e32 v90, v36, v50
	v_fma_f32 v50, v36, v51, -v91
	v_fmac_f32_e32 v98, v24, v54
	v_fma_f32 v54, v28, v59, -v103
	v_fma_f32 v59, v88, v46, -v113
	v_mul_f32_e32 v92, v39, v69
	v_mul_f32_e32 v93, v39, v68
	;; [unrolled: 1-line block ×11, first 2 shown]
	v_fmac_f32_e32 v100, v26, v56
	v_fma_f32 v56, v63, v40, -v107
	v_sub_f32_e32 v63, v50, v59
	v_mul_f32_e32 v97, v35, v52
	v_mul_f32_e32 v104, v31, v61
	;; [unrolled: 1-line block ×4, first 2 shown]
	v_fmac_f32_e32 v92, v38, v68
	v_fma_f32 v68, v38, v69, -v93
	v_fmac_f32_e32 v94, v32, v70
	v_fma_f32 v69, v32, v71, -v95
	;; [unrolled: 2-line block ×3, first 2 shown]
	v_fma_f32 v55, v30, v61, -v105
	v_fmac_f32_e32 v108, v64, v42
	v_fmac_f32_e32 v110, v66, v44
	;; [unrolled: 1-line block ×3, first 2 shown]
	v_add_f32_e32 v61, v50, v59
	v_mul_f32_e32 v64, 0xbeedf032, v63
	v_mul_f32_e32 v66, 0xbf52af12, v63
	;; [unrolled: 1-line block ×6, first 2 shown]
	v_fma_f32 v51, v34, v53, -v97
	v_fma_f32 v53, v26, v57, -v101
	v_fmac_f32_e32 v102, v28, v58
	v_fmac_f32_e32 v104, v30, v60
	v_fma_f32 v57, v65, v42, -v109
	v_fma_f32 v58, v67, v44, -v111
	v_add_f32_e32 v60, v90, v112
	v_mul_f32_e32 v65, 0x3f62ad3f, v61
	v_mul_f32_e32 v67, 0x3f116cb1, v61
	v_mov_b32_e32 v88, v64
	v_mov_b32_e32 v93, v66
	;; [unrolled: 1-line block ×6, first 2 shown]
	v_mul_f32_e32 v103, 0x3df6dbef, v61
	v_mul_f32_e32 v107, 0xbeb58ec6, v61
	;; [unrolled: 1-line block ×4, first 2 shown]
	v_fmac_f32_e32 v106, v62, v40
	v_sub_f32_e32 v62, v90, v112
	v_mov_b32_e32 v91, v65
	v_fma_f32 v64, v60, s4, -v64
	v_fma_f32 v66, v60, s5, -v66
	;; [unrolled: 1-line block ×4, first 2 shown]
	v_fmac_f32_e32 v88, 0x3f62ad3f, v60
	v_fmac_f32_e32 v93, 0x3f116cb1, v60
	;; [unrolled: 1-line block ×5, first 2 shown]
	v_fma_f32 v87, v60, s10, -v87
	v_fmac_f32_e32 v101, 0xbf788fa5, v60
	v_fma_f32 v60, v60, s11, -v63
	v_mov_b32_e32 v63, v67
	v_mov_b32_e32 v105, v103
	;; [unrolled: 1-line block ×5, first 2 shown]
	v_fmac_f32_e32 v65, 0xbeedf032, v62
	v_fmac_f32_e32 v91, 0x3eedf032, v62
	;; [unrolled: 1-line block ×12, first 2 shown]
	v_add_f32_e32 v50, v50, v49
	v_add_f32_e32 v62, v90, v48
	v_add_f32_e32 v90, v91, v49
	v_add_f32_e32 v65, v65, v49
	v_add_f32_e32 v91, v93, v48
	v_add_f32_e32 v63, v63, v49
	v_add_f32_e32 v67, v67, v49
	v_add_f32_e32 v93, v95, v48
	v_add_f32_e32 v95, v105, v49
	v_add_f32_e32 v103, v103, v49
	v_add_f32_e32 v105, v109, v49
	v_add_f32_e32 v107, v107, v49
	v_add_f32_e32 v109, v113, v49
	v_add_f32_e32 v111, v111, v49
	v_add_f32_e32 v113, v114, v49
	v_add_f32_e32 v61, v61, v49
	v_add_f32_e32 v49, v50, v68
	v_add_f32_e32 v49, v49, v69
	v_add_f32_e32 v49, v49, v51
	v_add_f32_e32 v49, v49, v52
	v_add_f32_e32 v49, v49, v53
	v_add_f32_e32 v64, v64, v48
	v_add_f32_e32 v88, v88, v48
	v_add_f32_e32 v66, v66, v48
	v_add_f32_e32 v70, v70, v48
	v_add_f32_e32 v97, v97, v48
	v_add_f32_e32 v71, v71, v48
	v_add_f32_e32 v99, v99, v48
	v_add_f32_e32 v87, v87, v48
	v_add_f32_e32 v101, v101, v48
	v_add_f32_e32 v60, v60, v48
	v_add_f32_e32 v48, v62, v92
	v_add_f32_e32 v49, v49, v54
	v_add_f32_e32 v48, v48, v94
	v_add_f32_e32 v49, v49, v55
	v_add_f32_e32 v48, v48, v96
	v_add_f32_e32 v49, v49, v56
	v_add_f32_e32 v48, v48, v98
	v_add_f32_e32 v49, v49, v57
	v_add_f32_e32 v48, v48, v100
	v_add_f32_e32 v49, v49, v58
	v_add_f32_e32 v62, v68, v58
	v_sub_f32_e32 v58, v68, v58
	v_add_f32_e32 v48, v48, v102
	v_mul_f32_e32 v68, 0xbf52af12, v58
	v_add_f32_e32 v48, v48, v104
	v_add_f32_e32 v49, v49, v59
	v_add_f32_e32 v50, v92, v110
	v_sub_f32_e32 v59, v92, v110
	v_mov_b32_e32 v92, v68
	v_add_f32_e32 v48, v48, v106
	v_fmac_f32_e32 v92, 0x3f116cb1, v50
	v_add_f32_e32 v48, v48, v108
	v_add_f32_e32 v88, v92, v88
	v_mul_f32_e32 v92, 0x3f116cb1, v62
	v_fma_f32 v68, v50, s5, -v68
	v_add_f32_e32 v48, v48, v110
	v_mov_b32_e32 v110, v92
	v_add_f32_e32 v64, v68, v64
	v_fmac_f32_e32 v92, 0xbf52af12, v59
	v_mul_f32_e32 v68, 0xbf6f5d39, v58
	v_add_f32_e32 v65, v92, v65
	v_mov_b32_e32 v92, v68
	v_fmac_f32_e32 v92, 0xbeb58ec6, v50
	v_fmac_f32_e32 v110, 0x3f52af12, v59
	v_add_f32_e32 v91, v92, v91
	v_mul_f32_e32 v92, 0xbeb58ec6, v62
	v_fma_f32 v68, v50, s7, -v68
	v_add_f32_e32 v90, v110, v90
	v_mov_b32_e32 v110, v92
	v_add_f32_e32 v66, v68, v66
	v_fmac_f32_e32 v92, 0xbf6f5d39, v59
	v_mul_f32_e32 v68, 0xbe750f2a, v58
	v_add_f32_e32 v67, v92, v67
	v_mov_b32_e32 v92, v68
	v_fmac_f32_e32 v92, 0xbf788fa5, v50
	v_fmac_f32_e32 v110, 0x3f6f5d39, v59
	v_add_f32_e32 v92, v92, v93
	v_mul_f32_e32 v93, 0xbf788fa5, v62
	v_add_f32_e32 v63, v110, v63
	v_mov_b32_e32 v110, v93
	v_fma_f32 v68, v50, s11, -v68
	v_fmac_f32_e32 v93, 0xbe750f2a, v59
	v_add_f32_e32 v68, v68, v70
	v_add_f32_e32 v70, v93, v103
	v_mul_f32_e32 v93, 0x3f29c268, v58
	v_mov_b32_e32 v103, v93
	v_fmac_f32_e32 v103, 0xbf3f9e67, v50
	v_fmac_f32_e32 v110, 0x3e750f2a, v59
	v_add_f32_e32 v97, v103, v97
	v_mul_f32_e32 v103, 0xbf3f9e67, v62
	v_add_f32_e32 v95, v110, v95
	v_mov_b32_e32 v110, v103
	v_fma_f32 v93, v50, s10, -v93
	v_fmac_f32_e32 v103, 0x3f29c268, v59
	v_add_f32_e32 v71, v93, v71
	v_add_f32_e32 v93, v103, v107
	v_mul_f32_e32 v103, 0x3f7e222b, v58
	v_mov_b32_e32 v107, v103
	v_fmac_f32_e32 v107, 0x3df6dbef, v50
	v_fmac_f32_e32 v110, 0xbf29c268, v59
	v_add_f32_e32 v99, v107, v99
	v_mul_f32_e32 v107, 0x3df6dbef, v62
	v_add_f32_e32 v105, v110, v105
	v_mov_b32_e32 v110, v107
	v_fma_f32 v103, v50, s6, -v103
	v_fmac_f32_e32 v107, 0x3f7e222b, v59
	v_mul_f32_e32 v58, 0x3eedf032, v58
	v_add_f32_e32 v87, v103, v87
	v_add_f32_e32 v103, v107, v111
	v_mov_b32_e32 v107, v58
	v_fmac_f32_e32 v107, 0x3f62ad3f, v50
	v_mul_f32_e32 v62, 0x3f62ad3f, v62
	v_fma_f32 v50, v50, s4, -v58
	v_add_f32_e32 v101, v107, v101
	v_mov_b32_e32 v107, v62
	v_add_f32_e32 v50, v50, v60
	v_fmac_f32_e32 v62, 0x3eedf032, v59
	v_add_f32_e32 v60, v69, v57
	v_sub_f32_e32 v57, v69, v57
	v_add_f32_e32 v58, v62, v61
	v_mul_f32_e32 v62, 0xbf7e222b, v57
	v_fmac_f32_e32 v110, 0xbf7e222b, v59
	v_fmac_f32_e32 v107, 0xbeedf032, v59
	v_add_f32_e32 v59, v94, v108
	v_mov_b32_e32 v69, v62
	v_fmac_f32_e32 v69, 0x3df6dbef, v59
	v_sub_f32_e32 v61, v94, v108
	v_add_f32_e32 v69, v69, v88
	v_mul_f32_e32 v88, 0x3df6dbef, v60
	v_mov_b32_e32 v94, v88
	v_fma_f32 v62, v59, s6, -v62
	v_fmac_f32_e32 v88, 0xbf7e222b, v61
	v_add_f32_e32 v62, v62, v64
	v_add_f32_e32 v64, v88, v65
	v_mul_f32_e32 v65, 0xbe750f2a, v57
	v_mov_b32_e32 v88, v65
	v_fmac_f32_e32 v88, 0xbf788fa5, v59
	v_fmac_f32_e32 v94, 0x3f7e222b, v61
	v_add_f32_e32 v88, v88, v91
	v_mul_f32_e32 v91, 0xbf788fa5, v60
	v_add_f32_e32 v90, v94, v90
	v_mov_b32_e32 v94, v91
	v_fma_f32 v65, v59, s11, -v65
	v_fmac_f32_e32 v91, 0xbe750f2a, v61
	v_add_f32_e32 v65, v65, v66
	v_add_f32_e32 v66, v91, v67
	v_mul_f32_e32 v67, 0x3f6f5d39, v57
	v_mov_b32_e32 v91, v67
	v_fmac_f32_e32 v91, 0xbeb58ec6, v59
	v_fmac_f32_e32 v94, 0x3e750f2a, v61
	v_add_f32_e32 v91, v91, v92
	v_mul_f32_e32 v92, 0xbeb58ec6, v60
	v_add_f32_e32 v63, v94, v63
	v_mov_b32_e32 v94, v92
	v_fma_f32 v67, v59, s7, -v67
	v_fmac_f32_e32 v92, 0x3f6f5d39, v61
	v_add_f32_e32 v67, v67, v68
	v_add_f32_e32 v68, v92, v70
	v_mul_f32_e32 v70, 0x3eedf032, v57
	v_fmac_f32_e32 v94, 0xbf6f5d39, v61
	v_mov_b32_e32 v92, v70
	v_add_f32_e32 v94, v94, v95
	v_fmac_f32_e32 v92, 0x3f62ad3f, v59
	v_mul_f32_e32 v95, 0x3f62ad3f, v60
	v_add_f32_e32 v92, v92, v97
	v_mov_b32_e32 v97, v95
	v_fma_f32 v70, v59, s4, -v70
	v_fmac_f32_e32 v95, 0x3eedf032, v61
	v_add_f32_e32 v70, v70, v71
	v_add_f32_e32 v71, v95, v93
	v_mul_f32_e32 v93, 0xbf52af12, v57
	v_mov_b32_e32 v95, v93
	v_fmac_f32_e32 v95, 0x3f116cb1, v59
	v_fmac_f32_e32 v97, 0xbeedf032, v61
	v_add_f32_e32 v95, v95, v99
	v_mul_f32_e32 v99, 0x3f116cb1, v60
	v_add_f32_e32 v97, v97, v105
	v_mov_b32_e32 v105, v99
	v_fma_f32 v93, v59, s5, -v93
	v_fmac_f32_e32 v99, 0xbf52af12, v61
	v_mul_f32_e32 v57, 0xbf29c268, v57
	v_add_f32_e32 v87, v93, v87
	v_add_f32_e32 v93, v99, v103
	v_mov_b32_e32 v99, v57
	v_fmac_f32_e32 v99, 0xbf3f9e67, v59
	v_mul_f32_e32 v60, 0xbf3f9e67, v60
	v_fma_f32 v57, v59, s10, -v57
	v_add_f32_e32 v59, v51, v56
	v_sub_f32_e32 v51, v51, v56
	v_add_f32_e32 v99, v99, v101
	v_mov_b32_e32 v101, v60
	v_fmac_f32_e32 v60, 0xbf29c268, v61
	v_mul_f32_e32 v56, 0xbf6f5d39, v51
	v_fmac_f32_e32 v105, 0x3f52af12, v61
	v_fmac_f32_e32 v101, 0x3f29c268, v61
	v_add_f32_e32 v50, v57, v50
	v_add_f32_e32 v57, v60, v58
	;; [unrolled: 1-line block ×3, first 2 shown]
	v_mov_b32_e32 v61, v56
	v_fmac_f32_e32 v61, 0xbeb58ec6, v58
	v_sub_f32_e32 v60, v96, v106
	v_add_f32_e32 v61, v61, v69
	v_mul_f32_e32 v69, 0xbeb58ec6, v59
	v_mov_b32_e32 v96, v69
	v_fma_f32 v56, v58, s7, -v56
	v_fmac_f32_e32 v69, 0xbf6f5d39, v60
	v_add_f32_e32 v56, v56, v62
	v_add_f32_e32 v62, v69, v64
	v_mul_f32_e32 v64, 0x3f29c268, v51
	v_mov_b32_e32 v69, v64
	v_fmac_f32_e32 v69, 0xbf3f9e67, v58
	v_fmac_f32_e32 v96, 0x3f6f5d39, v60
	v_add_f32_e32 v69, v69, v88
	v_mul_f32_e32 v88, 0xbf3f9e67, v59
	v_add_f32_e32 v90, v96, v90
	v_mov_b32_e32 v96, v88
	v_fma_f32 v64, v58, s10, -v64
	v_fmac_f32_e32 v88, 0x3f29c268, v60
	v_add_f32_e32 v64, v64, v65
	v_add_f32_e32 v65, v88, v66
	v_mul_f32_e32 v66, 0x3eedf032, v51
	v_mov_b32_e32 v88, v66
	v_fmac_f32_e32 v88, 0x3f62ad3f, v58
	v_fmac_f32_e32 v96, 0xbf29c268, v60
	v_add_f32_e32 v88, v88, v91
	v_mul_f32_e32 v91, 0x3f62ad3f, v59
	v_add_f32_e32 v63, v96, v63
	;; [unrolled: 12-line block ×4, first 2 shown]
	v_mov_b32_e32 v97, v95
	v_fma_f32 v71, v58, s11, -v71
	v_fmac_f32_e32 v95, 0x3e750f2a, v60
	v_mul_f32_e32 v51, 0x3f52af12, v51
	v_add_f32_e32 v71, v71, v87
	v_add_f32_e32 v87, v95, v93
	v_mov_b32_e32 v93, v51
	v_fmac_f32_e32 v93, 0x3f116cb1, v58
	v_mul_f32_e32 v59, 0x3f116cb1, v59
	v_fma_f32 v51, v58, s5, -v51
	v_add_f32_e32 v58, v52, v55
	v_sub_f32_e32 v52, v52, v55
	v_mov_b32_e32 v95, v59
	v_fmac_f32_e32 v59, 0x3f52af12, v60
	v_mul_f32_e32 v55, 0xbf29c268, v52
	v_fmac_f32_e32 v97, 0xbe750f2a, v60
	v_fmac_f32_e32 v95, 0xbf52af12, v60
	v_add_f32_e32 v50, v51, v50
	v_add_f32_e32 v51, v59, v57
	;; [unrolled: 1-line block ×3, first 2 shown]
	v_mov_b32_e32 v60, v55
	v_fmac_f32_e32 v60, 0xbf3f9e67, v57
	v_sub_f32_e32 v59, v98, v104
	v_add_f32_e32 v60, v60, v61
	v_mul_f32_e32 v61, 0xbf3f9e67, v58
	v_mov_b32_e32 v98, v61
	v_fma_f32 v55, v57, s10, -v55
	v_fmac_f32_e32 v61, 0xbf29c268, v59
	v_add_f32_e32 v55, v55, v56
	v_add_f32_e32 v56, v61, v62
	v_mul_f32_e32 v61, 0x3f7e222b, v52
	v_mov_b32_e32 v62, v61
	v_fmac_f32_e32 v62, 0x3df6dbef, v57
	v_fmac_f32_e32 v98, 0x3f29c268, v59
	v_add_f32_e32 v62, v62, v69
	v_mul_f32_e32 v69, 0x3df6dbef, v58
	v_add_f32_e32 v90, v98, v90
	v_mov_b32_e32 v98, v69
	v_fma_f32 v61, v57, s6, -v61
	v_fmac_f32_e32 v69, 0x3f7e222b, v59
	v_add_f32_e32 v61, v61, v64
	v_add_f32_e32 v64, v69, v65
	v_mul_f32_e32 v65, 0xbf52af12, v52
	v_mov_b32_e32 v69, v65
	v_fmac_f32_e32 v69, 0x3f116cb1, v57
	v_fmac_f32_e32 v98, 0xbf7e222b, v59
	v_add_f32_e32 v69, v69, v88
	v_mul_f32_e32 v88, 0x3f116cb1, v58
	v_add_f32_e32 v63, v98, v63
	;; [unrolled: 12-line block ×4, first 2 shown]
	v_add_f32_e32 v96, v98, v96
	v_mov_b32_e32 v98, v92
	v_fma_f32 v70, v57, s4, -v70
	v_fmac_f32_e32 v92, 0x3eedf032, v59
	v_mul_f32_e32 v52, 0xbf6f5d39, v52
	v_add_f32_e32 v109, v110, v109
	v_add_f32_e32 v101, v101, v107
	;; [unrolled: 1-line block ×4, first 2 shown]
	v_mov_b32_e32 v87, v52
	v_add_f32_e32 v105, v105, v109
	v_add_f32_e32 v93, v93, v99
	;; [unrolled: 1-line block ×3, first 2 shown]
	v_fmac_f32_e32 v87, 0xbeb58ec6, v57
	v_mul_f32_e32 v58, 0xbeb58ec6, v58
	v_fma_f32 v52, v57, s7, -v52
	v_sub_f32_e32 v101, v53, v54
	v_add_f32_e32 v97, v97, v105
	v_fmac_f32_e32 v98, 0xbeedf032, v59
	v_add_f32_e32 v87, v87, v93
	v_mov_b32_e32 v92, v58
	v_add_f32_e32 v93, v52, v50
	v_add_f32_e32 v99, v53, v54
	v_mul_f32_e32 v52, 0xbe750f2a, v101
	v_add_f32_e32 v97, v98, v97
	v_fmac_f32_e32 v92, 0x3f6f5d39, v59
	v_fmac_f32_e32 v58, 0xbf6f5d39, v59
	v_add_f32_e32 v98, v100, v102
	v_sub_f32_e32 v100, v100, v102
	v_mov_b32_e32 v50, v52
	v_mul_f32_e32 v53, 0xbf788fa5, v99
	v_add_f32_e32 v92, v92, v95
	v_add_f32_e32 v95, v58, v51
	v_fmac_f32_e32 v50, 0xbf788fa5, v98
	v_mov_b32_e32 v51, v53
	v_fmac_f32_e32 v53, 0xbe750f2a, v100
	v_add_f32_e32 v50, v50, v60
	v_fma_f32 v52, v98, s11, -v52
	v_add_f32_e32 v53, v53, v56
	v_mul_f32_e32 v56, 0x3eedf032, v101
	v_mul_f32_e32 v57, 0x3f62ad3f, v99
	;; [unrolled: 1-line block ×3, first 2 shown]
	v_add_f32_e32 v52, v52, v55
	v_mov_b32_e32 v54, v56
	v_mov_b32_e32 v55, v57
	v_fmac_f32_e32 v57, 0x3eedf032, v100
	v_mov_b32_e32 v58, v60
	v_fma_f32 v60, v98, s10, -v60
	v_fmac_f32_e32 v54, 0x3f62ad3f, v98
	v_fmac_f32_e32 v55, 0xbeedf032, v100
	v_fma_f32 v56, v98, s4, -v56
	v_add_f32_e32 v57, v57, v64
	v_add_f32_e32 v60, v60, v65
	v_mul_f32_e32 v64, 0x3f52af12, v101
	v_mul_f32_e32 v65, 0x3f116cb1, v99
	v_add_f32_e32 v54, v54, v62
	v_add_f32_e32 v55, v55, v63
	;; [unrolled: 1-line block ×3, first 2 shown]
	v_mul_f32_e32 v61, 0xbf3f9e67, v99
	v_mov_b32_e32 v62, v64
	v_mov_b32_e32 v63, v65
	v_fmac_f32_e32 v65, 0x3f52af12, v100
	v_fmac_f32_e32 v58, 0xbf3f9e67, v98
	v_mov_b32_e32 v59, v61
	v_fmac_f32_e32 v61, 0xbf29c268, v100
	v_fmac_f32_e32 v62, 0x3f116cb1, v98
	v_add_f32_e32 v65, v65, v68
	v_mul_f32_e32 v68, 0xbf6f5d39, v101
	v_fmac_f32_e32 v51, 0x3e750f2a, v100
	v_add_f32_e32 v58, v58, v69
	v_add_f32_e32 v61, v61, v66
	;; [unrolled: 1-line block ×3, first 2 shown]
	v_fma_f32 v64, v98, s5, -v64
	v_mov_b32_e32 v66, v68
	v_mul_f32_e32 v69, 0xbeb58ec6, v99
	v_fma_f32 v68, v98, s7, -v68
	v_mul_f32_e32 v88, 0x3f7e222b, v101
	v_add_f32_e32 v51, v51, v90
	v_add_f32_e32 v64, v64, v67
	v_mov_b32_e32 v67, v69
	v_add_f32_e32 v68, v68, v70
	v_fmac_f32_e32 v69, 0xbf6f5d39, v100
	v_mov_b32_e32 v70, v88
	v_mul_f32_e32 v90, 0x3df6dbef, v99
	v_add_f32_e32 v69, v69, v71
	v_fmac_f32_e32 v70, 0x3df6dbef, v98
	v_mov_b32_e32 v71, v90
	v_fmac_f32_e32 v90, 0x3f7e222b, v100
	v_add_f32_e32 v70, v70, v87
	v_fma_f32 v87, v98, s6, -v88
	v_add_f32_e32 v88, v90, v95
	v_lshrrev_b32_e32 v90, 2, v72
	v_mul_u32_u24_e32 v90, 52, v90
	v_or_b32_e32 v90, v90, v83
	v_add_f32_e32 v48, v48, v112
	v_fmac_f32_e32 v59, 0x3f29c268, v100
	v_fmac_f32_e32 v63, 0xbf52af12, v100
	;; [unrolled: 1-line block ×5, first 2 shown]
	v_lshl_add_u32 v90, v90, 3, 0
	v_add_f32_e32 v59, v59, v94
	v_add_f32_e32 v63, v63, v96
	;; [unrolled: 1-line block ×6, first 2 shown]
	ds_write2_b64 v90, v[48:49], v[50:51] offset1:4
	ds_write2_b64 v90, v[54:55], v[58:59] offset0:8 offset1:12
	ds_write2_b64 v90, v[62:63], v[66:67] offset0:16 offset1:20
	;; [unrolled: 1-line block ×5, first 2 shown]
	ds_write_b64 v90, v[52:53] offset:384
	s_and_saveexec_b64 s[2:3], vcc
	s_cbranch_execz .LBB0_29
; %bb.28:
	v_mul_f32_e32 v49, v3, v37
	v_mul_f32_e32 v50, v86, v47
	v_fmac_f32_e32 v49, v2, v36
	v_fmac_f32_e32 v50, v85, v46
	v_sub_f32_e32 v48, v49, v50
	v_mul_f32_e32 v47, v85, v47
	v_mul_f32_e32 v2, v2, v37
	;; [unrolled: 1-line block ×3, first 2 shown]
	v_fma_f32 v46, v86, v46, -v47
	v_fma_f32 v36, v3, v36, -v2
	v_add_f32_e32 v37, v36, v46
	v_mov_b32_e32 v2, v51
	v_mul_f32_e32 v47, v13, v39
	v_mul_f32_e32 v52, v23, v45
	v_fmac_f32_e32 v2, 0xbf788fa5, v37
	v_fmac_f32_e32 v47, v12, v38
	v_fmac_f32_e32 v52, v22, v44
	v_add_f32_e32 v3, v1, v2
	v_sub_f32_e32 v2, v47, v52
	v_mul_f32_e32 v22, v22, v45
	v_mul_f32_e32 v12, v12, v39
	v_mul_f32_e32 v53, 0x3eedf032, v2
	v_fma_f32 v22, v23, v44, -v22
	v_fma_f32 v23, v13, v38, -v12
	v_mul_f32_e32 v39, v15, v33
	v_mul_f32_e32 v44, v21, v43
	v_add_f32_e32 v38, v23, v22
	v_mov_b32_e32 v12, v53
	v_fmac_f32_e32 v39, v14, v32
	v_fmac_f32_e32 v44, v20, v42
	v_mul_f32_e32 v13, v20, v43
	v_fmac_f32_e32 v12, 0x3f62ad3f, v38
	v_sub_f32_e32 v45, v39, v44
	v_fma_f32 v20, v21, v42, -v13
	v_mul_f32_e32 v13, v14, v33
	v_add_f32_e32 v3, v12, v3
	v_mul_f32_e32 v12, 0xbf29c268, v45
	v_fma_f32 v21, v15, v32, -v13
	v_mul_f32_e32 v32, v9, v35
	v_mul_f32_e32 v33, v19, v41
	v_add_f32_e32 v15, v21, v20
	v_mov_b32_e32 v13, v12
	v_fmac_f32_e32 v32, v8, v34
	v_fmac_f32_e32 v33, v18, v40
	;; [unrolled: 1-line block ×3, first 2 shown]
	v_sub_f32_e32 v42, v32, v33
	v_mul_f32_e32 v14, v18, v41
	v_mul_f32_e32 v8, v8, v35
	v_add_f32_e32 v3, v13, v3
	v_mul_f32_e32 v13, 0x3f52af12, v42
	v_fma_f32 v18, v19, v40, -v14
	v_fma_f32 v19, v9, v34, -v8
	v_mul_f32_e32 v35, v11, v25
	v_mul_f32_e32 v40, v17, v31
	v_add_f32_e32 v34, v19, v18
	v_mov_b32_e32 v8, v13
	v_fmac_f32_e32 v35, v10, v24
	v_fmac_f32_e32 v40, v16, v30
	v_mul_f32_e32 v9, v16, v31
	v_fmac_f32_e32 v8, 0x3f116cb1, v34
	v_sub_f32_e32 v41, v35, v40
	v_fma_f32 v17, v17, v30, -v9
	v_mul_f32_e32 v9, v10, v25
	v_add_f32_e32 v3, v8, v3
	v_mul_f32_e32 v8, 0xbf6f5d39, v41
	v_fma_f32 v24, v11, v24, -v9
	v_mul_f32_e32 v25, v5, v27
	v_mul_f32_e32 v30, v7, v29
	v_add_f32_e32 v16, v24, v17
	v_mov_b32_e32 v9, v8
	v_fmac_f32_e32 v25, v4, v26
	v_fmac_f32_e32 v30, v6, v28
	;; [unrolled: 1-line block ×3, first 2 shown]
	v_sub_f32_e32 v31, v25, v30
	v_mul_f32_e32 v6, v6, v29
	v_mul_f32_e32 v4, v4, v27
	v_add_f32_e32 v3, v9, v3
	v_mul_f32_e32 v9, 0x3f7e222b, v31
	v_fma_f32 v28, v7, v28, -v6
	v_fma_f32 v26, v5, v26, -v4
	v_add_f32_e32 v27, v26, v28
	v_mov_b32_e32 v4, v9
	v_sub_f32_e32 v43, v36, v46
	v_fmac_f32_e32 v4, 0x3df6dbef, v27
	v_add_f32_e32 v29, v49, v50
	v_mul_f32_e32 v5, 0xbe750f2a, v43
	v_sub_f32_e32 v55, v23, v22
	v_add_f32_e32 v4, v4, v3
	v_fma_f32 v3, v29, s11, -v5
	v_add_f32_e32 v54, v47, v52
	v_mul_f32_e32 v7, 0x3eedf032, v55
	v_sub_f32_e32 v57, v21, v20
	v_add_f32_e32 v3, v0, v3
	v_fma_f32 v6, v54, s4, -v7
	;; [unrolled: 5-line block ×5, first 2 shown]
	v_add_f32_e32 v62, v25, v30
	v_mul_f32_e32 v64, 0x3f7e222b, v63
	v_add_f32_e32 v3, v6, v3
	v_fma_f32 v6, v62, s6, -v64
	v_add_f32_e32 v3, v6, v3
	v_fma_f32 v6, v37, s11, -v51
	;; [unrolled: 2-line block ×3, first 2 shown]
	v_fmac_f32_e32 v5, 0xbf788fa5, v29
	v_add_f32_e32 v6, v51, v6
	v_fma_f32 v12, v15, s10, -v12
	v_add_f32_e32 v5, v0, v5
	v_fmac_f32_e32 v7, 0x3f62ad3f, v54
	v_add_f32_e32 v6, v12, v6
	v_fma_f32 v12, v34, s5, -v13
	v_add_f32_e32 v5, v7, v5
	;; [unrolled: 4-line block ×3, first 2 shown]
	v_fmac_f32_e32 v11, 0x3f116cb1, v58
	v_mul_f32_e32 v51, 0xbf3f9e67, v37
	v_add_f32_e32 v6, v8, v6
	v_fma_f32 v8, v27, s6, -v9
	v_add_f32_e32 v5, v11, v5
	v_fmac_f32_e32 v14, 0xbeb58ec6, v60
	v_mov_b32_e32 v7, v51
	v_mul_f32_e32 v53, 0x3df6dbef, v38
	v_add_f32_e32 v6, v8, v6
	v_add_f32_e32 v5, v14, v5
	v_fmac_f32_e32 v64, 0x3df6dbef, v62
	v_fmac_f32_e32 v7, 0x3f29c268, v48
	v_mov_b32_e32 v8, v53
	v_add_f32_e32 v5, v64, v5
	v_add_f32_e32 v7, v1, v7
	v_fmac_f32_e32 v8, 0xbf7e222b, v2
	v_mul_f32_e32 v64, 0x3f116cb1, v15
	v_add_f32_e32 v7, v8, v7
	v_mov_b32_e32 v8, v64
	v_fmac_f32_e32 v8, 0x3f52af12, v45
	v_mul_f32_e32 v65, 0xbf788fa5, v34
	v_add_f32_e32 v7, v8, v7
	v_mov_b32_e32 v8, v65
	v_fmac_f32_e32 v8, 0xbe750f2a, v42
	v_mul_f32_e32 v66, 0x3f62ad3f, v16
	v_add_f32_e32 v7, v8, v7
	v_mov_b32_e32 v8, v66
	v_fmac_f32_e32 v8, 0xbeedf032, v41
	v_mul_f32_e32 v67, 0xbeb58ec6, v27
	v_add_f32_e32 v7, v8, v7
	v_mov_b32_e32 v8, v67
	v_fmac_f32_e32 v8, 0x3f6f5d39, v31
	v_mul_f32_e32 v68, 0xbf29c268, v43
	v_add_f32_e32 v8, v8, v7
	v_mov_b32_e32 v7, v68
	v_mul_f32_e32 v69, 0x3f7e222b, v55
	v_fmac_f32_e32 v7, 0xbf3f9e67, v29
	v_mov_b32_e32 v9, v69
	v_add_f32_e32 v7, v0, v7
	v_fmac_f32_e32 v9, 0x3df6dbef, v54
	v_mul_f32_e32 v70, 0xbf52af12, v57
	v_add_f32_e32 v7, v9, v7
	v_mov_b32_e32 v9, v70
	v_fmac_f32_e32 v9, 0x3f116cb1, v56
	v_mul_f32_e32 v71, 0x3e750f2a, v59
	v_add_f32_e32 v7, v9, v7
	v_mov_b32_e32 v9, v71
	v_fmac_f32_e32 v9, 0xbf788fa5, v58
	v_mul_f32_e32 v85, 0x3eedf032, v61
	v_add_f32_e32 v7, v9, v7
	v_mov_b32_e32 v9, v85
	v_fmac_f32_e32 v9, 0x3f62ad3f, v60
	v_mul_f32_e32 v86, 0xbf6f5d39, v63
	v_add_f32_e32 v7, v9, v7
	v_mov_b32_e32 v9, v86
	v_fmac_f32_e32 v9, 0xbeb58ec6, v62
	v_mul_f32_e32 v87, 0xbeb58ec6, v37
	v_add_f32_e32 v7, v9, v7
	v_mov_b32_e32 v9, v87
	v_mul_f32_e32 v88, 0xbf3f9e67, v38
	v_fmac_f32_e32 v9, 0x3f6f5d39, v48
	v_mov_b32_e32 v10, v88
	v_add_f32_e32 v9, v1, v9
	v_fmac_f32_e32 v10, 0xbf29c268, v2
	v_mul_f32_e32 v90, 0x3f62ad3f, v15
	v_add_f32_e32 v9, v10, v9
	v_mov_b32_e32 v10, v90
	v_fmac_f32_e32 v10, 0xbeedf032, v45
	v_mul_f32_e32 v91, 0x3df6dbef, v34
	v_add_f32_e32 v9, v10, v9
	v_mov_b32_e32 v10, v91
	v_fmac_f32_e32 v10, 0x3f7e222b, v42
	v_mul_f32_e32 v92, 0xbf788fa5, v16
	v_add_f32_e32 v9, v10, v9
	v_mov_b32_e32 v10, v92
	v_fmac_f32_e32 v10, 0xbe750f2a, v41
	v_mul_f32_e32 v93, 0x3f116cb1, v27
	v_add_f32_e32 v9, v10, v9
	v_mov_b32_e32 v10, v93
	v_fmac_f32_e32 v10, 0xbf52af12, v31
	v_mul_f32_e32 v94, 0xbf6f5d39, v43
	v_add_f32_e32 v10, v10, v9
	v_mov_b32_e32 v9, v94
	v_mul_f32_e32 v95, 0x3f29c268, v55
	v_fmac_f32_e32 v9, 0xbeb58ec6, v29
	v_mov_b32_e32 v11, v95
	v_add_f32_e32 v9, v0, v9
	v_fmac_f32_e32 v11, 0xbf3f9e67, v54
	v_mul_f32_e32 v96, 0x3eedf032, v57
	v_add_f32_e32 v9, v11, v9
	v_mov_b32_e32 v11, v96
	v_fmac_f32_e32 v11, 0x3f62ad3f, v56
	v_mul_f32_e32 v97, 0xbf7e222b, v59
	v_add_f32_e32 v9, v11, v9
	v_mov_b32_e32 v11, v97
	v_fmac_f32_e32 v11, 0x3df6dbef, v58
	v_mul_f32_e32 v98, 0x3e750f2a, v61
	v_add_f32_e32 v9, v11, v9
	v_mov_b32_e32 v11, v98
	v_fmac_f32_e32 v11, 0xbf788fa5, v60
	v_mul_f32_e32 v99, 0x3f52af12, v63
	v_add_f32_e32 v9, v11, v9
	v_mov_b32_e32 v11, v99
	v_fmac_f32_e32 v11, 0x3f116cb1, v62
	v_mul_f32_e32 v100, 0x3df6dbef, v37
	v_add_f32_e32 v9, v11, v9
	v_mov_b32_e32 v11, v100
	v_mul_f32_e32 v101, 0xbf788fa5, v38
	v_fmac_f32_e32 v11, 0x3f7e222b, v48
	v_mov_b32_e32 v12, v101
	v_add_f32_e32 v11, v1, v11
	v_fmac_f32_e32 v12, 0x3e750f2a, v2
	v_mul_f32_e32 v102, 0xbeb58ec6, v15
	v_add_f32_e32 v11, v12, v11
	v_mov_b32_e32 v12, v102
	v_fmac_f32_e32 v12, 0xbf6f5d39, v45
	v_mul_f32_e32 v103, 0x3f62ad3f, v34
	v_add_f32_e32 v11, v12, v11
	v_mov_b32_e32 v12, v103
	v_fmac_f32_e32 v12, 0xbeedf032, v42
	v_mul_f32_e32 v104, 0x3f116cb1, v16
	v_add_f32_e32 v11, v12, v11
	v_mov_b32_e32 v12, v104
	v_fmac_f32_e32 v12, 0x3f52af12, v41
	v_mul_f32_e32 v105, 0xbf3f9e67, v27
	v_add_f32_e32 v11, v12, v11
	v_mov_b32_e32 v12, v105
	v_fmac_f32_e32 v12, 0x3f29c268, v31
	v_mul_f32_e32 v106, 0xbf7e222b, v43
	v_add_f32_e32 v12, v12, v11
	v_mov_b32_e32 v11, v106
	v_mul_f32_e32 v107, 0xbe750f2a, v55
	v_fmac_f32_e32 v11, 0x3df6dbef, v29
	v_mov_b32_e32 v13, v107
	v_add_f32_e32 v11, v0, v11
	v_fmac_f32_e32 v13, 0xbf788fa5, v54
	v_mul_f32_e32 v108, 0x3f6f5d39, v57
	v_add_f32_e32 v11, v13, v11
	v_mov_b32_e32 v13, v108
	v_fmac_f32_e32 v13, 0xbeb58ec6, v56
	v_mul_f32_e32 v109, 0x3eedf032, v59
	v_add_f32_e32 v11, v13, v11
	v_mov_b32_e32 v13, v109
	;; [unrolled: 4-line block ×3, first 2 shown]
	v_add_f32_e32 v36, v1, v36
	v_fmac_f32_e32 v13, 0x3f116cb1, v60
	v_mul_f32_e32 v111, 0xbf29c268, v63
	v_add_f32_e32 v23, v36, v23
	v_add_f32_e32 v11, v13, v11
	v_mov_b32_e32 v13, v111
	v_add_f32_e32 v21, v23, v21
	v_fmac_f32_e32 v13, 0xbf3f9e67, v62
	v_mul_f32_e32 v112, 0x3f116cb1, v37
	v_add_f32_e32 v19, v21, v19
	v_add_f32_e32 v11, v13, v11
	v_mov_b32_e32 v13, v112
	v_mul_f32_e32 v113, 0xbeb58ec6, v38
	v_add_f32_e32 v19, v19, v24
	v_fmac_f32_e32 v13, 0x3f52af12, v48
	v_mov_b32_e32 v14, v113
	v_add_f32_e32 v19, v19, v26
	v_add_f32_e32 v13, v1, v13
	v_fmac_f32_e32 v14, 0x3f6f5d39, v2
	v_mul_f32_e32 v114, 0xbf788fa5, v15
	v_add_f32_e32 v19, v19, v28
	v_fmac_f32_e32 v51, 0xbf29c268, v48
	v_add_f32_e32 v13, v14, v13
	v_mov_b32_e32 v14, v114
	v_add_f32_e32 v17, v19, v17
	v_add_f32_e32 v19, v1, v51
	v_fmac_f32_e32 v53, 0x3f7e222b, v2
	v_fmac_f32_e32 v14, 0x3e750f2a, v45
	v_mul_f32_e32 v115, 0xbf3f9e67, v34
	v_add_f32_e32 v19, v53, v19
	v_fmac_f32_e32 v64, 0xbf52af12, v45
	v_add_f32_e32 v13, v14, v13
	v_mov_b32_e32 v14, v115
	v_add_f32_e32 v19, v64, v19
	v_fmac_f32_e32 v65, 0x3e750f2a, v42
	v_fmac_f32_e32 v14, 0xbf29c268, v42
	v_mul_f32_e32 v116, 0x3df6dbef, v16
	v_add_f32_e32 v19, v65, v19
	v_fmac_f32_e32 v66, 0x3eedf032, v41
	v_add_f32_e32 v13, v14, v13
	v_mov_b32_e32 v14, v116
	v_add_f32_e32 v17, v17, v18
	v_add_f32_e32 v19, v66, v19
	v_fmac_f32_e32 v67, 0xbf6f5d39, v31
	v_fmac_f32_e32 v14, 0xbf7e222b, v41
	v_mul_f32_e32 v117, 0x3f62ad3f, v27
	v_add_f32_e32 v17, v17, v20
	v_add_f32_e32 v20, v67, v19
	v_fma_f32 v19, v29, s10, -v68
	v_add_f32_e32 v13, v14, v13
	v_mov_b32_e32 v14, v117
	v_add_f32_e32 v19, v0, v19
	v_fma_f32 v21, v54, s6, -v69
	v_fmac_f32_e32 v14, 0xbeedf032, v31
	v_mul_f32_e32 v118, 0xbf52af12, v43
	v_add_f32_e32 v19, v21, v19
	v_fma_f32 v21, v56, s5, -v70
	v_add_f32_e32 v14, v14, v13
	v_mov_b32_e32 v13, v118
	v_mul_f32_e32 v119, 0xbf6f5d39, v55
	v_add_f32_e32 v19, v21, v19
	v_fma_f32 v21, v58, s11, -v71
	v_fmac_f32_e32 v13, 0x3f116cb1, v29
	v_mov_b32_e32 v120, v119
	v_add_f32_e32 v19, v21, v19
	v_fma_f32 v21, v60, s4, -v85
	v_add_f32_e32 v13, v0, v13
	v_fmac_f32_e32 v120, 0xbeb58ec6, v54
	v_add_f32_e32 v19, v21, v19
	v_fma_f32 v21, v62, s7, -v86
	v_fmac_f32_e32 v87, 0xbf6f5d39, v48
	v_add_f32_e32 v13, v120, v13
	v_mul_f32_e32 v120, 0xbe750f2a, v57
	v_add_f32_e32 v19, v21, v19
	v_add_f32_e32 v21, v1, v87
	v_fmac_f32_e32 v88, 0x3f29c268, v2
	v_mov_b32_e32 v121, v120
	v_add_f32_e32 v21, v88, v21
	v_fmac_f32_e32 v90, 0x3eedf032, v45
	v_fmac_f32_e32 v121, 0xbf788fa5, v56
	v_add_f32_e32 v21, v90, v21
	v_fmac_f32_e32 v91, 0xbf7e222b, v42
	v_add_f32_e32 v13, v121, v13
	v_mul_f32_e32 v121, 0x3f29c268, v59
	v_add_f32_e32 v21, v91, v21
	v_fmac_f32_e32 v92, 0x3e750f2a, v41
	v_mov_b32_e32 v122, v121
	v_add_f32_e32 v21, v92, v21
	v_fmac_f32_e32 v93, 0x3f52af12, v31
	v_fmac_f32_e32 v122, 0xbf3f9e67, v58
	v_add_f32_e32 v17, v17, v22
	v_add_f32_e32 v22, v93, v21
	v_fma_f32 v21, v29, s7, -v94
	v_add_f32_e32 v13, v122, v13
	v_mul_f32_e32 v122, 0x3f7e222b, v61
	v_add_f32_e32 v21, v0, v21
	v_fma_f32 v23, v54, s10, -v95
	v_mov_b32_e32 v123, v122
	v_add_f32_e32 v21, v23, v21
	v_fma_f32 v23, v56, s4, -v96
	v_fmac_f32_e32 v123, 0x3df6dbef, v60
	v_add_f32_e32 v21, v23, v21
	v_fma_f32 v23, v58, s6, -v97
	v_add_f32_e32 v13, v123, v13
	v_mul_f32_e32 v123, 0x3eedf032, v63
	v_add_f32_e32 v21, v23, v21
	v_fma_f32 v23, v60, s11, -v98
	v_mov_b32_e32 v124, v123
	v_add_f32_e32 v21, v23, v21
	v_fma_f32 v23, v62, s5, -v99
	v_fmac_f32_e32 v100, 0xbf7e222b, v48
	v_fmac_f32_e32 v124, 0x3f62ad3f, v62
	v_mul_f32_e32 v37, 0x3f62ad3f, v37
	v_add_f32_e32 v21, v23, v21
	v_add_f32_e32 v23, v1, v100
	v_fmac_f32_e32 v101, 0xbe750f2a, v2
	v_add_f32_e32 v13, v124, v13
	v_mov_b32_e32 v124, v37
	v_mul_f32_e32 v38, 0x3f116cb1, v38
	v_add_f32_e32 v18, v17, v46
	v_add_f32_e32 v17, v0, v49
	;; [unrolled: 1-line block ×3, first 2 shown]
	v_fmac_f32_e32 v102, 0x3f6f5d39, v45
	v_fmac_f32_e32 v124, 0x3eedf032, v48
	v_mov_b32_e32 v125, v38
	v_add_f32_e32 v17, v17, v47
	v_add_f32_e32 v23, v102, v23
	v_fmac_f32_e32 v103, 0x3eedf032, v42
	v_add_f32_e32 v124, v1, v124
	v_fmac_f32_e32 v125, 0x3f52af12, v2
	v_add_f32_e32 v17, v17, v39
	v_add_f32_e32 v23, v103, v23
	v_fmac_f32_e32 v104, 0xbf52af12, v41
	v_add_f32_e32 v124, v125, v124
	v_mul_f32_e32 v125, 0x3df6dbef, v15
	v_add_f32_e32 v17, v17, v32
	v_add_f32_e32 v23, v104, v23
	v_fmac_f32_e32 v105, 0xbf29c268, v31
	v_mov_b32_e32 v15, v125
	v_add_f32_e32 v17, v17, v35
	v_add_f32_e32 v24, v105, v23
	v_fma_f32 v23, v29, s6, -v106
	v_fmac_f32_e32 v15, 0x3f7e222b, v45
	v_mul_f32_e32 v34, 0xbeb58ec6, v34
	v_add_f32_e32 v17, v17, v25
	v_add_f32_e32 v23, v0, v23
	v_fma_f32 v25, v54, s11, -v107
	v_add_f32_e32 v15, v15, v124
	v_mov_b32_e32 v124, v34
	v_add_f32_e32 v23, v25, v23
	v_fma_f32 v25, v56, s7, -v108
	v_fmac_f32_e32 v124, 0x3f6f5d39, v42
	v_add_f32_e32 v23, v25, v23
	v_fma_f32 v25, v58, s4, -v109
	v_add_f32_e32 v15, v124, v15
	v_mul_f32_e32 v124, 0xbf3f9e67, v16
	v_add_f32_e32 v23, v25, v23
	v_fma_f32 v25, v60, s5, -v110
	v_mov_b32_e32 v16, v124
	v_add_f32_e32 v23, v25, v23
	v_fma_f32 v25, v62, s10, -v111
	v_fmac_f32_e32 v112, 0xbf52af12, v48
	v_fmac_f32_e32 v16, 0x3f29c268, v41
	v_mul_f32_e32 v27, 0xbf788fa5, v27
	v_add_f32_e32 v23, v25, v23
	v_add_f32_e32 v25, v1, v112
	v_fmac_f32_e32 v113, 0xbf6f5d39, v2
	v_add_f32_e32 v15, v16, v15
	v_mov_b32_e32 v16, v27
	v_add_f32_e32 v25, v113, v25
	v_fmac_f32_e32 v114, 0xbe750f2a, v45
	v_fmac_f32_e32 v16, 0x3e750f2a, v31
	v_mul_f32_e32 v43, 0xbeedf032, v43
	v_add_f32_e32 v25, v114, v25
	v_fmac_f32_e32 v115, 0x3f29c268, v42
	v_add_f32_e32 v16, v16, v15
	v_mov_b32_e32 v15, v43
	v_mul_f32_e32 v55, 0xbf52af12, v55
	v_add_f32_e32 v25, v115, v25
	v_fmac_f32_e32 v116, 0x3f7e222b, v41
	v_fmac_f32_e32 v15, 0x3f62ad3f, v29
	v_mov_b32_e32 v126, v55
	v_add_f32_e32 v25, v116, v25
	v_fmac_f32_e32 v117, 0x3eedf032, v31
	v_add_f32_e32 v15, v0, v15
	v_fmac_f32_e32 v126, 0x3f116cb1, v54
	v_mul_f32_e32 v57, 0xbf7e222b, v57
	v_add_f32_e32 v26, v117, v25
	v_fma_f32 v25, v29, s5, -v118
	v_fmac_f32_e32 v38, 0xbf52af12, v2
	v_fma_f32 v2, v29, s4, -v43
	v_add_f32_e32 v15, v126, v15
	v_mov_b32_e32 v126, v57
	v_add_f32_e32 v25, v0, v25
	v_add_f32_e32 v0, v0, v2
	v_fma_f32 v2, v54, s5, -v55
	v_fmac_f32_e32 v126, 0x3df6dbef, v56
	v_mul_f32_e32 v59, 0xbf6f5d39, v59
	v_add_f32_e32 v0, v2, v0
	v_fma_f32 v2, v56, s6, -v57
	v_add_f32_e32 v15, v126, v15
	v_mov_b32_e32 v126, v59
	v_mul_f32_e32 v61, 0xbf29c268, v61
	v_add_f32_e32 v0, v2, v0
	v_fma_f32 v2, v58, s7, -v59
	v_fmac_f32_e32 v126, 0xbeb58ec6, v58
	v_mul_f32_e32 v63, 0xbe750f2a, v63
	v_add_f32_e32 v17, v17, v30
	v_fmac_f32_e32 v37, 0xbeedf032, v48
	v_add_f32_e32 v0, v2, v0
	v_fma_f32 v2, v60, s10, -v61
	v_add_f32_e32 v15, v126, v15
	v_mov_b32_e32 v126, v61
	v_add_f32_e32 v17, v17, v40
	v_fma_f32 v28, v54, s7, -v119
	v_add_f32_e32 v1, v1, v37
	v_add_f32_e32 v0, v2, v0
	v_fma_f32 v2, v62, s11, -v63
	v_fmac_f32_e32 v126, 0xbf3f9e67, v60
	v_add_f32_e32 v17, v17, v33
	v_add_f32_e32 v25, v28, v25
	v_fma_f32 v28, v56, s11, -v120
	v_add_f32_e32 v1, v38, v1
	v_fmac_f32_e32 v125, 0xbf7e222b, v45
	v_add_f32_e32 v0, v2, v0
	v_lshrrev_b32_e32 v2, 2, v77
	v_add_f32_e32 v15, v126, v15
	v_mov_b32_e32 v126, v63
	v_add_f32_e32 v17, v17, v44
	v_add_f32_e32 v25, v28, v25
	v_fma_f32 v28, v58, s10, -v121
	v_add_f32_e32 v1, v125, v1
	v_fmac_f32_e32 v34, 0xbf6f5d39, v42
	v_mul_u32_u24_e32 v2, 52, v2
	v_fmac_f32_e32 v126, 0xbf788fa5, v62
	v_add_f32_e32 v17, v17, v52
	v_add_f32_e32 v25, v28, v25
	v_fma_f32 v28, v60, s6, -v122
	v_add_f32_e32 v1, v34, v1
	v_fmac_f32_e32 v124, 0xbf29c268, v41
	v_or_b32_e32 v2, v2, v83
	v_add_f32_e32 v15, v126, v15
	v_add_f32_e32 v17, v17, v50
	;; [unrolled: 1-line block ×3, first 2 shown]
	v_fma_f32 v28, v62, s4, -v123
	v_add_f32_e32 v1, v124, v1
	v_fmac_f32_e32 v27, 0xbe750f2a, v31
	v_lshl_add_u32 v2, v2, 3, 0
	v_add_f32_e32 v25, v28, v25
	v_add_f32_e32 v1, v27, v1
	ds_write2_b64 v2, v[17:18], v[15:16] offset1:4
	ds_write2_b64 v2, v[13:14], v[11:12] offset0:8 offset1:12
	ds_write2_b64 v2, v[9:10], v[7:8] offset0:16 offset1:20
	;; [unrolled: 1-line block ×5, first 2 shown]
	ds_write_b64 v2, v[0:1] offset:384
.LBB0_29:
	s_or_b64 exec, exec, s[2:3]
	v_mul_u32_u24_e32 v0, 6, v72
	v_lshlrev_b32_e32 v0, 3, v0
	s_movk_i32 s2, 0x4f
	s_waitcnt lgkmcnt(0)
	; wave barrier
	s_waitcnt lgkmcnt(0)
	global_load_dwordx4 v[5:8], v0, s[8:9] offset:400
	global_load_dwordx4 v[9:12], v0, s[8:9] offset:416
	;; [unrolled: 1-line block ×3, first 2 shown]
	v_mul_lo_u16_sdwa v0, v73, s2 dst_sel:DWORD dst_unused:UNUSED_PAD src0_sel:BYTE_0 src1_sel:DWORD
	v_lshrrev_b16_e32 v0, 12, v0
	v_mul_lo_u16_e32 v0, 52, v0
	v_sub_u16_e32 v0, v73, v0
	v_and_b32_e32 v71, 0xff, v0
	v_mul_u32_u24_e32 v0, 6, v71
	v_lshlrev_b32_e32 v0, 3, v0
	global_load_dwordx4 v[17:20], v0, s[8:9] offset:400
	global_load_dwordx4 v[21:24], v0, s[8:9] offset:416
	;; [unrolled: 1-line block ×3, first 2 shown]
	ds_read2_b64 v[29:32], v89 offset1:52
	ds_read2_b64 v[33:36], v89 offset0:104 offset1:156
	v_add_u32_e32 v1, 0x800, v89
	v_add_u32_e32 v0, 0x1000, v89
	;; [unrolled: 1-line block ×5, first 2 shown]
	ds_read_b64 v[69:70], v89 offset:8320
	ds_read2_b64 v[37:40], v1 offset0:56 offset1:108
	ds_read2_b64 v[41:44], v1 offset0:160 offset1:212
	;; [unrolled: 1-line block ×8, first 2 shown]
	s_mov_b32 s2, 0xbf5ff5aa
	s_mov_b32 s3, 0x3f3bfb3b
	;; [unrolled: 1-line block ×4, first 2 shown]
	s_waitcnt lgkmcnt(0)
	; wave barrier
	s_waitcnt vmcnt(5) lgkmcnt(0)
	v_mul_f32_e32 v73, v6, v36
	v_mul_f32_e32 v77, v6, v35
	s_waitcnt vmcnt(4)
	v_mul_f32_e32 v88, v46, v12
	v_mul_f32_e32 v95, v58, v6
	;; [unrolled: 1-line block ×4, first 2 shown]
	s_waitcnt vmcnt(3)
	v_mul_f32_e32 v93, v54, v16
	v_fmac_f32_e32 v73, v5, v35
	v_fma_f32 v35, v5, v36, -v77
	v_fmac_f32_e32 v88, v45, v11
	v_fmac_f32_e32 v95, v57, v5
	v_fma_f32 v45, v58, v5, -v6
	s_waitcnt vmcnt(2)
	v_mul_f32_e32 v5, v59, v18
	v_mul_f32_e32 v83, v8, v38
	;; [unrolled: 1-line block ×5, first 2 shown]
	v_fmac_f32_e32 v93, v53, v15
	v_fma_f32 v53, v60, v17, -v5
	s_waitcnt vmcnt(1)
	v_mul_f32_e32 v5, v63, v22
	v_mul_f32_e32 v85, v8, v37
	;; [unrolled: 1-line block ×4, first 2 shown]
	v_fmac_f32_e32 v83, v7, v37
	v_fma_f32 v37, v9, v44, -v87
	v_fma_f32 v44, v54, v15, -v94
	v_fmac_f32_e32 v100, v55, v15
	v_fma_f32 v54, v64, v21, -v5
	v_mul_f32_e32 v55, v50, v24
	v_mul_f32_e32 v5, v49, v24
	;; [unrolled: 1-line block ×5, first 2 shown]
	v_fmac_f32_e32 v55, v49, v23
	v_fma_f32 v49, v50, v23, -v5
	s_waitcnt vmcnt(0)
	v_mul_f32_e32 v5, v67, v26
	v_mul_f32_e32 v92, v51, v14
	;; [unrolled: 1-line block ×6, first 2 shown]
	v_fma_f32 v36, v7, v38, -v85
	v_fma_f32 v38, v46, v11, -v90
	v_fmac_f32_e32 v91, v51, v13
	v_fma_f32 v46, v48, v11, -v12
	v_fma_f32 v48, v56, v15, -v16
	;; [unrolled: 1-line block ×3, first 2 shown]
	v_mul_f32_e32 v5, v69, v28
	v_mul_f32_e32 v99, v66, v14
	;; [unrolled: 1-line block ×3, first 2 shown]
	v_fmac_f32_e32 v86, v9, v43
	v_fma_f32 v43, v52, v13, -v92
	v_fmac_f32_e32 v96, v39, v7
	v_fma_f32 v39, v40, v7, -v8
	;; [unrolled: 2-line block ×3, first 2 shown]
	v_mul_f32_e32 v51, v60, v18
	v_mul_f32_e32 v52, v42, v20
	;; [unrolled: 1-line block ×3, first 2 shown]
	v_fma_f32 v58, v70, v27, -v5
	v_add_f32_e32 v5, v73, v93
	v_add_f32_e32 v9, v83, v91
	v_fmac_f32_e32 v98, v47, v11
	v_fmac_f32_e32 v99, v65, v13
	v_fma_f32 v47, v66, v13, -v14
	v_fmac_f32_e32 v51, v59, v17
	v_fmac_f32_e32 v52, v41, v19
	v_fma_f32 v41, v42, v19, -v6
	v_mul_f32_e32 v42, v64, v22
	v_add_f32_e32 v6, v35, v44
	v_add_f32_e32 v10, v36, v43
	v_sub_f32_e32 v11, v83, v91
	v_add_f32_e32 v13, v86, v88
	v_sub_f32_e32 v15, v88, v86
	v_add_f32_e32 v17, v9, v5
	v_fmac_f32_e32 v42, v63, v21
	v_sub_f32_e32 v7, v73, v93
	v_sub_f32_e32 v12, v36, v43
	v_add_f32_e32 v14, v37, v38
	v_sub_f32_e32 v16, v38, v37
	v_add_f32_e32 v18, v10, v6
	v_sub_f32_e32 v19, v9, v5
	v_sub_f32_e32 v21, v5, v13
	v_sub_f32_e32 v9, v13, v9
	v_add_f32_e32 v5, v15, v11
	v_add_f32_e32 v13, v13, v17
	v_mul_f32_e32 v57, v70, v28
	v_sub_f32_e32 v8, v35, v44
	v_sub_f32_e32 v20, v10, v6
	;; [unrolled: 1-line block ×4, first 2 shown]
	v_add_f32_e32 v6, v16, v12
	v_sub_f32_e32 v23, v15, v11
	v_sub_f32_e32 v15, v7, v15
	;; [unrolled: 1-line block ×3, first 2 shown]
	v_add_f32_e32 v14, v14, v18
	v_add_f32_e32 v7, v5, v7
	;; [unrolled: 1-line block ×3, first 2 shown]
	v_mul_f32_e32 v50, v68, v26
	v_fmac_f32_e32 v57, v69, v27
	v_sub_f32_e32 v24, v16, v12
	v_sub_f32_e32 v16, v8, v16
	;; [unrolled: 1-line block ×3, first 2 shown]
	v_add_f32_e32 v8, v6, v8
	v_add_f32_e32 v6, v14, v30
	v_mov_b32_e32 v27, v5
	v_fmac_f32_e32 v50, v67, v25
	v_mul_f32_e32 v17, 0x3f4a47b2, v21
	v_mul_f32_e32 v18, 0x3f4a47b2, v22
	;; [unrolled: 1-line block ×7, first 2 shown]
	v_fmac_f32_e32 v27, 0xbf955555, v13
	v_mov_b32_e32 v13, v6
	v_mul_f32_e32 v24, 0x3f08b237, v24
	v_fmac_f32_e32 v13, 0xbf955555, v14
	v_fma_f32 v14, v19, s3, -v21
	v_fma_f32 v21, v20, s3, -v22
	;; [unrolled: 1-line block ×3, first 2 shown]
	v_fmac_f32_e32 v17, 0x3d64c772, v9
	v_fma_f32 v9, v20, s4, -v18
	v_fmac_f32_e32 v18, 0x3d64c772, v10
	v_fma_f32 v20, v11, s2, -v23
	;; [unrolled: 2-line block ×3, first 2 shown]
	v_fma_f32 v15, v16, s5, -v26
	v_fma_f32 v22, v12, s2, -v24
	v_fmac_f32_e32 v24, 0xbeae86e6, v16
	v_add_f32_e32 v18, v18, v13
	v_add_f32_e32 v19, v19, v27
	v_fmac_f32_e32 v23, 0xbee1c552, v7
	v_fmac_f32_e32 v15, 0xbee1c552, v8
	v_add_f32_e32 v17, v17, v27
	v_add_f32_e32 v14, v14, v27
	;; [unrolled: 1-line block ×4, first 2 shown]
	v_fmac_f32_e32 v24, 0xbee1c552, v8
	v_fmac_f32_e32 v20, 0xbee1c552, v7
	;; [unrolled: 1-line block ×4, first 2 shown]
	v_sub_f32_e32 v8, v18, v23
	v_add_f32_e32 v9, v15, v19
	v_sub_f32_e32 v15, v19, v15
	v_add_f32_e32 v18, v23, v18
	v_add_f32_e32 v19, v95, v100
	;; [unrolled: 1-line block ×4, first 2 shown]
	v_sub_f32_e32 v10, v21, v25
	v_sub_f32_e32 v11, v14, v22
	v_add_f32_e32 v12, v20, v16
	v_add_f32_e32 v13, v22, v14
	v_sub_f32_e32 v14, v16, v20
	v_add_f32_e32 v16, v25, v21
	v_sub_f32_e32 v17, v17, v24
	v_add_f32_e32 v20, v45, v48
	v_add_f32_e32 v24, v39, v47
	v_sub_f32_e32 v25, v96, v99
	v_add_f32_e32 v27, v97, v98
	v_sub_f32_e32 v29, v98, v97
	;; [unrolled: 2-line block ×3, first 2 shown]
	v_sub_f32_e32 v26, v39, v47
	v_add_f32_e32 v28, v40, v46
	v_sub_f32_e32 v30, v46, v40
	v_add_f32_e32 v36, v24, v20
	v_sub_f32_e32 v37, v23, v19
	v_sub_f32_e32 v39, v19, v27
	;; [unrolled: 1-line block ×3, first 2 shown]
	v_add_f32_e32 v19, v29, v25
	v_add_f32_e32 v27, v27, v35
	v_sub_f32_e32 v22, v45, v48
	v_sub_f32_e32 v38, v24, v20
	v_sub_f32_e32 v40, v20, v28
	v_sub_f32_e32 v24, v28, v24
	v_add_f32_e32 v20, v30, v26
	v_sub_f32_e32 v43, v29, v25
	v_sub_f32_e32 v29, v21, v29
	;; [unrolled: 1-line block ×3, first 2 shown]
	v_add_f32_e32 v28, v28, v36
	v_add_f32_e32 v21, v19, v21
	;; [unrolled: 1-line block ×3, first 2 shown]
	v_sub_f32_e32 v44, v30, v26
	v_sub_f32_e32 v30, v22, v30
	v_sub_f32_e32 v26, v26, v22
	v_add_f32_e32 v22, v20, v22
	v_add_f32_e32 v20, v28, v32
	v_mov_b32_e32 v45, v19
	v_mul_f32_e32 v31, 0x3f4a47b2, v39
	v_mul_f32_e32 v32, 0x3f4a47b2, v40
	v_mul_f32_e32 v35, 0x3d64c772, v23
	v_mul_f32_e32 v36, 0x3d64c772, v24
	v_mul_f32_e32 v39, 0x3f08b237, v43
	v_mul_f32_e32 v40, 0x3f08b237, v44
	v_mul_f32_e32 v43, 0xbf5ff5aa, v25
	v_mul_f32_e32 v44, 0xbf5ff5aa, v26
	v_fmac_f32_e32 v45, 0xbf955555, v27
	v_mov_b32_e32 v27, v20
	v_fmac_f32_e32 v27, 0xbf955555, v28
	v_fma_f32 v28, v37, s3, -v35
	v_fma_f32 v35, v38, s3, -v36
	;; [unrolled: 1-line block ×3, first 2 shown]
	v_fmac_f32_e32 v31, 0x3d64c772, v23
	v_fma_f32 v23, v38, s4, -v32
	v_fmac_f32_e32 v32, 0x3d64c772, v24
	v_fma_f32 v37, v25, s2, -v39
	;; [unrolled: 2-line block ×3, first 2 shown]
	v_fma_f32 v29, v30, s5, -v44
	v_fma_f32 v38, v26, s2, -v40
	v_fmac_f32_e32 v40, 0xbeae86e6, v30
	v_add_f32_e32 v32, v32, v27
	v_add_f32_e32 v30, v35, v27
	;; [unrolled: 1-line block ×3, first 2 shown]
	v_fmac_f32_e32 v39, 0xbee1c552, v21
	v_fmac_f32_e32 v29, 0xbee1c552, v22
	v_add_f32_e32 v31, v31, v45
	v_add_f32_e32 v28, v28, v45
	;; [unrolled: 1-line block ×3, first 2 shown]
	v_fmac_f32_e32 v40, 0xbee1c552, v22
	v_fmac_f32_e32 v37, 0xbee1c552, v21
	;; [unrolled: 1-line block ×4, first 2 shown]
	v_sub_f32_e32 v22, v32, v39
	v_add_f32_e32 v23, v29, v35
	v_sub_f32_e32 v29, v35, v29
	v_add_f32_e32 v32, v39, v32
	v_add_f32_e32 v35, v51, v57
	v_add_f32_e32 v39, v52, v50
	v_add_f32_e32 v21, v40, v31
	v_sub_f32_e32 v24, v36, v43
	v_sub_f32_e32 v25, v28, v38
	v_add_f32_e32 v26, v37, v30
	v_add_f32_e32 v27, v38, v28
	v_sub_f32_e32 v28, v30, v37
	v_add_f32_e32 v30, v43, v36
	v_sub_f32_e32 v31, v31, v40
	v_add_f32_e32 v36, v53, v58
	v_add_f32_e32 v40, v41, v56
	;; [unrolled: 1-line block ×5, first 2 shown]
	v_sub_f32_e32 v46, v49, v54
	v_add_f32_e32 v48, v40, v36
	v_sub_f32_e32 v49, v39, v35
	v_sub_f32_e32 v35, v35, v44
	;; [unrolled: 1-line block ×3, first 2 shown]
	v_add_f32_e32 v44, v44, v47
	v_sub_f32_e32 v43, v52, v50
	v_sub_f32_e32 v41, v41, v56
	;; [unrolled: 1-line block ×6, first 2 shown]
	v_add_f32_e32 v45, v45, v48
	v_add_f32_e32 v33, v44, v33
	v_sub_f32_e32 v37, v51, v57
	v_sub_f32_e32 v38, v53, v58
	v_add_f32_e32 v51, v42, v43
	v_add_f32_e32 v52, v46, v41
	v_sub_f32_e32 v53, v42, v43
	v_sub_f32_e32 v54, v46, v41
	v_add_f32_e32 v34, v45, v34
	v_mov_b32_e32 v55, v33
	v_sub_f32_e32 v42, v37, v42
	v_sub_f32_e32 v46, v38, v46
	;; [unrolled: 1-line block ×4, first 2 shown]
	v_add_f32_e32 v37, v51, v37
	v_add_f32_e32 v38, v52, v38
	v_mul_f32_e32 v35, 0x3f4a47b2, v35
	v_mul_f32_e32 v36, 0x3f4a47b2, v36
	;; [unrolled: 1-line block ×6, first 2 shown]
	v_fmac_f32_e32 v55, 0xbf955555, v44
	v_mov_b32_e32 v44, v34
	v_mul_f32_e32 v53, 0xbf5ff5aa, v43
	v_mul_f32_e32 v54, 0xbf5ff5aa, v41
	v_fmac_f32_e32 v44, 0xbf955555, v45
	v_fma_f32 v45, v49, s3, -v47
	v_fma_f32 v47, v50, s3, -v48
	;; [unrolled: 1-line block ×3, first 2 shown]
	v_fmac_f32_e32 v35, 0x3d64c772, v39
	v_fma_f32 v39, v50, s4, -v36
	v_fmac_f32_e32 v36, 0x3d64c772, v40
	v_fma_f32 v43, v43, s2, -v51
	;; [unrolled: 2-line block ×4, first 2 shown]
	v_fma_f32 v46, v46, s5, -v54
	v_add_f32_e32 v50, v35, v55
	v_add_f32_e32 v53, v36, v44
	v_fmac_f32_e32 v51, 0xbee1c552, v37
	v_fmac_f32_e32 v52, 0xbee1c552, v38
	ds_write2_b64 v89, v[5:6], v[7:8] offset1:52
	ds_write2_b64 v89, v[9:10], v[11:12] offset0:104 offset1:156
	ds_write2_b64 v3, v[13:14], v[15:16] offset0:80 offset1:132
	ds_write2_b64 v1, v[17:18], v[19:20] offset0:56 offset1:108
	ds_write2_b64 v1, v[21:22], v[23:24] offset0:160 offset1:212
	ds_write2_b64 v0, v[25:26], v[27:28] offset0:8 offset1:60
	ds_write2_b64 v0, v[29:30], v[31:32] offset0:112 offset1:164
	v_lshl_add_u32 v5, v71, 3, 0
	v_add_f32_e32 v42, v45, v55
	v_add_f32_e32 v45, v47, v44
	;; [unrolled: 1-line block ×4, first 2 shown]
	v_fmac_f32_e32 v43, 0xbee1c552, v37
	v_fmac_f32_e32 v41, 0xbee1c552, v38
	;; [unrolled: 1-line block ×4, first 2 shown]
	v_add_f32_e32 v35, v52, v50
	v_sub_f32_e32 v36, v53, v51
	v_add_u32_e32 v6, 0x1400, v5
	v_add_f32_e32 v37, v46, v47
	v_sub_f32_e32 v38, v44, v49
	v_sub_f32_e32 v39, v42, v41
	v_add_f32_e32 v40, v43, v45
	ds_write2_b64 v6, v[33:34], v[35:36] offset0:88 offset1:140
	v_add_u32_e32 v6, 0x1800, v5
	v_mov_b32_e32 v77, 0
	v_add_f32_e32 v41, v41, v42
	v_sub_f32_e32 v42, v45, v43
	v_sub_f32_e32 v43, v47, v46
	v_add_f32_e32 v44, v49, v44
	v_sub_f32_e32 v45, v50, v52
	v_add_f32_e32 v46, v51, v53
	ds_write2_b64 v6, v[37:38], v[39:40] offset0:64 offset1:116
	ds_write2_b64 v6, v[41:42], v[43:44] offset0:168 offset1:220
	ds_write_b64 v5, v[45:46] offset:8320
	v_lshlrev_b64 v[5:6], 3, v[76:77]
	v_mov_b32_e32 v83, v77
	v_mov_b32_e32 v31, s9
	v_add_co_u32_e32 v5, vcc, s8, v5
	v_lshlrev_b64 v[9:10], 3, v[82:83]
	v_addc_co_u32_e32 v6, vcc, v31, v6, vcc
	v_mov_b32_e32 v85, v77
	s_waitcnt lgkmcnt(0)
	; wave barrier
	s_waitcnt lgkmcnt(0)
	global_load_dwordx4 v[5:8], v[5:6], off offset:2896
	v_add_co_u32_e32 v9, vcc, s8, v9
	v_lshlrev_b64 v[13:14], 3, v[84:85]
	v_addc_co_u32_e32 v10, vcc, v31, v10, vcc
	global_load_dwordx4 v[9:12], v[9:10], off offset:2896
	v_mov_b32_e32 v82, v77
	v_add_co_u32_e32 v13, vcc, s8, v13
	v_lshlrev_b64 v[17:18], 3, v[81:82]
	v_addc_co_u32_e32 v14, vcc, v31, v14, vcc
	v_mov_b32_e32 v81, v77
	global_load_dwordx4 v[13:16], v[13:14], off offset:2896
	v_add_co_u32_e32 v17, vcc, s8, v17
	v_lshlrev_b64 v[21:22], 3, v[80:81]
	v_addc_co_u32_e32 v18, vcc, v31, v18, vcc
	global_load_dwordx4 v[17:20], v[17:18], off offset:2896
	v_mov_b32_e32 v80, v77
	v_add_co_u32_e32 v21, vcc, s8, v21
	v_lshlrev_b64 v[25:26], 3, v[79:80]
	v_addc_co_u32_e32 v22, vcc, v31, v22, vcc
	v_mov_b32_e32 v79, v77
	global_load_dwordx4 v[21:24], v[21:22], off offset:2896
	v_add_co_u32_e32 v25, vcc, s8, v25
	v_lshlrev_b64 v[29:30], 3, v[78:79]
	v_addc_co_u32_e32 v26, vcc, v31, v26, vcc
	global_load_dwordx4 v[25:28], v[25:26], off offset:2896
	v_add_co_u32_e32 v29, vcc, s8, v29
	v_addc_co_u32_e32 v30, vcc, v31, v30, vcc
	global_load_dwordx4 v[29:32], v[29:30], off offset:2896
	ds_read2_b64 v[33:36], v89 offset1:52
	ds_read2_b64 v[37:40], v1 offset0:56 offset1:108
	ds_read2_b64 v[41:44], v4 offset0:88 offset1:140
	ds_read2_b64 v[45:48], v1 offset0:160 offset1:212
	ds_read2_b64 v[49:52], v89 offset0:104 offset1:156
	ds_read2_b64 v[53:56], v2 offset0:64 offset1:116
	ds_read2_b64 v[57:60], v0 offset0:8 offset1:60
	ds_read2_b64 v[61:64], v3 offset0:80 offset1:132
	ds_read2_b64 v[65:68], v2 offset0:168 offset1:220
	ds_read2_b64 v[78:81], v0 offset0:112 offset1:164
	ds_read_b64 v[69:70], v89 offset:8320
	s_waitcnt lgkmcnt(0)
	; wave barrier
	s_waitcnt vmcnt(6) lgkmcnt(0)
	v_mul_f32_e32 v71, v6, v40
	v_mul_f32_e32 v6, v6, v39
	v_fmac_f32_e32 v71, v5, v39
	v_fma_f32 v39, v5, v40, -v6
	v_mul_f32_e32 v40, v8, v42
	v_mul_f32_e32 v5, v8, v41
	v_fmac_f32_e32 v40, v7, v41
	v_fma_f32 v8, v7, v42, -v5
	s_waitcnt vmcnt(5)
	v_mul_f32_e32 v41, v10, v46
	v_mul_f32_e32 v5, v10, v45
	v_fmac_f32_e32 v41, v9, v45
	v_fma_f32 v42, v9, v46, -v5
	v_mul_f32_e32 v45, v12, v44
	v_mul_f32_e32 v5, v12, v43
	v_fmac_f32_e32 v45, v11, v43
	v_fma_f32 v43, v11, v44, -v5
	s_waitcnt vmcnt(4)
	;; [unrolled: 9-line block ×4, first 2 shown]
	v_mul_f32_e32 v5, v59, v22
	v_fma_f32 v58, v60, v21, -v5
	v_mul_f32_e32 v5, v65, v24
	v_mul_f32_e32 v56, v60, v22
	v_fma_f32 v60, v66, v23, -v5
	s_waitcnt vmcnt(1)
	v_mul_f32_e32 v5, v78, v26
	v_fmac_f32_e32 v56, v59, v21
	v_mul_f32_e32 v59, v66, v24
	v_fma_f32 v66, v79, v25, -v5
	v_mul_f32_e32 v73, v68, v28
	v_mul_f32_e32 v5, v67, v28
	v_add_f32_e32 v6, v71, v40
	v_fmac_f32_e32 v59, v65, v23
	v_mul_f32_e32 v65, v79, v26
	v_fmac_f32_e32 v73, v67, v27
	v_fma_f32 v67, v68, v27, -v5
	s_waitcnt vmcnt(0)
	v_mul_f32_e32 v5, v80, v30
	v_fma_f32 v7, -0.5, v6, v33
	v_add_f32_e32 v28, v58, v60
	v_fmac_f32_e32 v65, v78, v25
	v_fma_f32 v76, v81, v29, -v5
	v_mul_f32_e32 v78, v70, v32
	v_mul_f32_e32 v5, v69, v32
	v_sub_f32_e32 v6, v39, v8
	v_mov_b32_e32 v9, v7
	v_fma_f32 v28, -0.5, v28, v62
	v_mul_f32_e32 v68, v81, v30
	v_fmac_f32_e32 v78, v69, v31
	v_fma_f32 v69, v70, v31, -v5
	v_fmac_f32_e32 v9, 0xbf5db3d7, v6
	v_fmac_f32_e32 v7, 0x3f5db3d7, v6
	v_add_f32_e32 v6, v34, v39
	v_sub_f32_e32 v31, v56, v59
	v_mov_b32_e32 v30, v28
	v_add_f32_e32 v32, v65, v73
	v_add_f32_e32 v6, v6, v8
	;; [unrolled: 1-line block ×4, first 2 shown]
	v_fmac_f32_e32 v30, 0x3f5db3d7, v31
	v_fmac_f32_e32 v28, 0xbf5db3d7, v31
	v_add_f32_e32 v31, v63, v65
	v_fma_f32 v63, -0.5, v32, v63
	v_add_f32_e32 v5, v33, v71
	v_fma_f32 v8, -0.5, v8, v34
	v_fma_f32 v18, -0.5, v18, v50
	v_sub_f32_e32 v32, v66, v67
	v_mov_b32_e32 v33, v63
	v_add_f32_e32 v34, v66, v67
	v_fmac_f32_e32 v68, v80, v29
	v_sub_f32_e32 v11, v71, v40
	v_mov_b32_e32 v10, v8
	v_add_f32_e32 v12, v41, v45
	v_sub_f32_e32 v21, v44, v47
	v_mov_b32_e32 v20, v18
	v_add_f32_e32 v22, v53, v57
	v_fmac_f32_e32 v33, 0xbf5db3d7, v32
	v_fmac_f32_e32 v63, 0x3f5db3d7, v32
	v_add_f32_e32 v32, v64, v66
	v_fmac_f32_e32 v64, -0.5, v34
	v_add_f32_e32 v5, v5, v40
	v_fmac_f32_e32 v10, 0x3f5db3d7, v11
	v_fmac_f32_e32 v8, 0xbf5db3d7, v11
	v_add_f32_e32 v11, v35, v41
	v_fma_f32 v35, -0.5, v12, v35
	v_fmac_f32_e32 v20, 0x3f5db3d7, v21
	v_fmac_f32_e32 v18, 0xbf5db3d7, v21
	v_add_f32_e32 v21, v51, v53
	v_fma_f32 v51, -0.5, v22, v51
	v_sub_f32_e32 v39, v65, v73
	v_mov_b32_e32 v34, v64
	v_add_f32_e32 v40, v68, v78
	v_sub_f32_e32 v12, v42, v43
	v_mov_b32_e32 v13, v35
	v_add_f32_e32 v14, v42, v43
	v_add_f32_e32 v16, v44, v47
	v_sub_f32_e32 v22, v54, v55
	v_mov_b32_e32 v23, v51
	v_add_f32_e32 v24, v54, v55
	v_add_f32_e32 v26, v56, v59
	v_fmac_f32_e32 v34, 0x3f5db3d7, v39
	v_fmac_f32_e32 v64, 0xbf5db3d7, v39
	v_add_f32_e32 v39, v37, v68
	v_fma_f32 v37, -0.5, v40, v37
	v_fmac_f32_e32 v13, 0xbf5db3d7, v12
	v_fmac_f32_e32 v35, 0x3f5db3d7, v12
	v_add_f32_e32 v12, v36, v42
	v_fmac_f32_e32 v36, -0.5, v14
	v_sub_f32_e32 v15, v41, v45
	v_fma_f32 v17, -0.5, v16, v49
	v_fmac_f32_e32 v23, 0xbf5db3d7, v22
	v_fmac_f32_e32 v51, 0x3f5db3d7, v22
	v_add_f32_e32 v22, v52, v54
	v_fmac_f32_e32 v52, -0.5, v24
	v_fma_f32 v27, -0.5, v26, v61
	v_sub_f32_e32 v40, v76, v69
	v_mov_b32_e32 v41, v37
	v_add_f32_e32 v42, v76, v69
	v_mov_b32_e32 v14, v36
	v_sub_f32_e32 v16, v46, v48
	v_mov_b32_e32 v19, v17
	v_sub_f32_e32 v25, v53, v57
	;; [unrolled: 2-line block ×3, first 2 shown]
	v_mov_b32_e32 v29, v27
	v_fmac_f32_e32 v41, 0xbf5db3d7, v40
	v_fmac_f32_e32 v37, 0x3f5db3d7, v40
	v_add_f32_e32 v40, v38, v76
	v_fmac_f32_e32 v38, -0.5, v42
	v_add_f32_e32 v11, v11, v45
	v_add_f32_e32 v12, v12, v43
	v_fmac_f32_e32 v14, 0x3f5db3d7, v15
	v_fmac_f32_e32 v36, 0xbf5db3d7, v15
	v_add_f32_e32 v15, v49, v44
	v_fmac_f32_e32 v19, 0xbf5db3d7, v16
	v_fmac_f32_e32 v17, 0x3f5db3d7, v16
	;; [unrolled: 3-line block ×4, first 2 shown]
	v_add_f32_e32 v26, v62, v58
	v_sub_f32_e32 v43, v68, v78
	v_mov_b32_e32 v42, v38
	v_add_f32_e32 v15, v15, v47
	v_add_f32_e32 v16, v16, v48
	;; [unrolled: 1-line block ×10, first 2 shown]
	v_fmac_f32_e32 v42, 0x3f5db3d7, v43
	v_fmac_f32_e32 v38, 0xbf5db3d7, v43
	ds_write2_b64 v89, v[5:6], v[11:12] offset1:52
	ds_write2_b64 v4, v[7:8], v[35:36] offset0:88 offset1:140
	ds_write2_b64 v1, v[13:14], v[19:20] offset0:160 offset1:212
	;; [unrolled: 1-line block ×9, first 2 shown]
	ds_write_b64 v89, v[37:38] offset:8320
	s_waitcnt lgkmcnt(0)
	; wave barrier
	s_waitcnt lgkmcnt(0)
	s_and_saveexec_b64 s[2:3], s[0:1]
	s_cbranch_execz .LBB0_31
; %bb.30:
	v_lshl_add_u32 v6, v72, 3, 0
	v_mov_b32_e32 v73, v77
	ds_read2_b64 v[0:3], v6 offset1:52
	v_mov_b32_e32 v4, s13
	v_add_co_u32_e32 v7, vcc, s12, v74
	v_addc_co_u32_e32 v8, vcc, v4, v75, vcc
	v_lshlrev_b64 v[4:5], 3, v[72:73]
	v_add_u32_e32 v76, 52, v72
	v_add_co_u32_e32 v4, vcc, v7, v4
	v_addc_co_u32_e32 v5, vcc, v8, v5, vcc
	s_waitcnt lgkmcnt(0)
	global_store_dwordx2 v[4:5], v[0:1], off
	v_lshlrev_b64 v[0:1], 3, v[76:77]
	v_add_u32_e32 v76, 0x68, v72
	v_add_co_u32_e32 v0, vcc, v7, v0
	v_addc_co_u32_e32 v1, vcc, v8, v1, vcc
	global_store_dwordx2 v[0:1], v[2:3], off
	ds_read2_b64 v[0:3], v6 offset0:104 offset1:156
	v_lshlrev_b64 v[4:5], 3, v[76:77]
	v_add_u32_e32 v76, 0x9c, v72
	v_add_co_u32_e32 v4, vcc, v7, v4
	v_addc_co_u32_e32 v5, vcc, v8, v5, vcc
	s_waitcnt lgkmcnt(0)
	global_store_dwordx2 v[4:5], v[0:1], off
	v_lshlrev_b64 v[0:1], 3, v[76:77]
	v_add_u32_e32 v76, 0xd0, v72
	v_add_co_u32_e32 v0, vcc, v7, v0
	v_addc_co_u32_e32 v1, vcc, v8, v1, vcc
	global_store_dwordx2 v[0:1], v[2:3], off
	v_add_u32_e32 v0, 0x400, v6
	ds_read2_b64 v[0:3], v0 offset0:80 offset1:132
	v_lshlrev_b64 v[4:5], 3, v[76:77]
	v_add_u32_e32 v76, 0x104, v72
	v_add_co_u32_e32 v4, vcc, v7, v4
	v_addc_co_u32_e32 v5, vcc, v8, v5, vcc
	s_waitcnt lgkmcnt(0)
	global_store_dwordx2 v[4:5], v[0:1], off
	v_lshlrev_b64 v[0:1], 3, v[76:77]
	v_add_u32_e32 v9, 0x800, v6
	v_add_co_u32_e32 v0, vcc, v7, v0
	v_addc_co_u32_e32 v1, vcc, v8, v1, vcc
	global_store_dwordx2 v[0:1], v[2:3], off
	v_add_u32_e32 v76, 0x138, v72
	ds_read2_b64 v[0:3], v9 offset0:56 offset1:108
	v_lshlrev_b64 v[4:5], 3, v[76:77]
	v_add_u32_e32 v76, 0x16c, v72
	v_add_co_u32_e32 v4, vcc, v7, v4
	v_addc_co_u32_e32 v5, vcc, v8, v5, vcc
	s_waitcnt lgkmcnt(0)
	global_store_dwordx2 v[4:5], v[0:1], off
	v_lshlrev_b64 v[0:1], 3, v[76:77]
	v_add_u32_e32 v76, 0x1a0, v72
	v_add_co_u32_e32 v0, vcc, v7, v0
	v_addc_co_u32_e32 v1, vcc, v8, v1, vcc
	global_store_dwordx2 v[0:1], v[2:3], off
	ds_read2_b64 v[0:3], v9 offset0:160 offset1:212
	v_lshlrev_b64 v[4:5], 3, v[76:77]
	v_add_u32_e32 v76, 0x1d4, v72
	v_add_co_u32_e32 v4, vcc, v7, v4
	v_addc_co_u32_e32 v5, vcc, v8, v5, vcc
	s_waitcnt lgkmcnt(0)
	global_store_dwordx2 v[4:5], v[0:1], off
	v_lshlrev_b64 v[0:1], 3, v[76:77]
	v_add_u32_e32 v9, 0x1000, v6
	v_add_co_u32_e32 v0, vcc, v7, v0
	v_addc_co_u32_e32 v1, vcc, v8, v1, vcc
	global_store_dwordx2 v[0:1], v[2:3], off
	v_add_u32_e32 v76, 0x208, v72
	ds_read2_b64 v[0:3], v9 offset0:8 offset1:60
	v_lshlrev_b64 v[4:5], 3, v[76:77]
	v_add_u32_e32 v76, 0x23c, v72
	v_add_co_u32_e32 v4, vcc, v7, v4
	v_addc_co_u32_e32 v5, vcc, v8, v5, vcc
	s_waitcnt lgkmcnt(0)
	global_store_dwordx2 v[4:5], v[0:1], off
	v_lshlrev_b64 v[0:1], 3, v[76:77]
	v_add_u32_e32 v76, 0x270, v72
	v_add_co_u32_e32 v0, vcc, v7, v0
	v_addc_co_u32_e32 v1, vcc, v8, v1, vcc
	global_store_dwordx2 v[0:1], v[2:3], off
	;; [unrolled: 25-line block ×3, first 2 shown]
	v_add_u32_e32 v76, 0x340, v72
	ds_read2_b64 v[0:3], v9 offset0:64 offset1:116
	v_lshlrev_b64 v[4:5], 3, v[76:77]
	v_add_u32_e32 v76, 0x374, v72
	v_add_co_u32_e32 v4, vcc, v7, v4
	v_addc_co_u32_e32 v5, vcc, v8, v5, vcc
	s_waitcnt lgkmcnt(0)
	global_store_dwordx2 v[4:5], v[0:1], off
	v_lshlrev_b64 v[0:1], 3, v[76:77]
	v_add_u32_e32 v76, 0x3a8, v72
	v_add_co_u32_e32 v0, vcc, v7, v0
	v_addc_co_u32_e32 v1, vcc, v8, v1, vcc
	global_store_dwordx2 v[0:1], v[2:3], off
	ds_read2_b64 v[0:3], v9 offset0:168 offset1:220
	v_lshlrev_b64 v[4:5], 3, v[76:77]
	v_add_u32_e32 v76, 0x3dc, v72
	v_add_co_u32_e32 v4, vcc, v7, v4
	v_addc_co_u32_e32 v5, vcc, v8, v5, vcc
	s_waitcnt lgkmcnt(0)
	global_store_dwordx2 v[4:5], v[0:1], off
	v_lshlrev_b64 v[0:1], 3, v[76:77]
	v_add_u32_e32 v76, 0x410, v72
	v_add_co_u32_e32 v0, vcc, v7, v0
	v_addc_co_u32_e32 v1, vcc, v8, v1, vcc
	global_store_dwordx2 v[0:1], v[2:3], off
	ds_read_b64 v[0:1], v6 offset:8320
	v_lshlrev_b64 v[2:3], 3, v[76:77]
	v_add_co_u32_e32 v2, vcc, v7, v2
	v_addc_co_u32_e32 v3, vcc, v8, v3, vcc
	s_waitcnt lgkmcnt(0)
	global_store_dwordx2 v[2:3], v[0:1], off
.LBB0_31:
	s_endpgm
	.section	.rodata,"a",@progbits
	.p2align	6, 0x0
	.amdhsa_kernel fft_rtc_back_len1092_factors_2_2_13_7_3_wgs_52_tpt_52_halfLds_sp_ip_CI_unitstride_sbrr_C2R_dirReg
		.amdhsa_group_segment_fixed_size 0
		.amdhsa_private_segment_fixed_size 0
		.amdhsa_kernarg_size 88
		.amdhsa_user_sgpr_count 6
		.amdhsa_user_sgpr_private_segment_buffer 1
		.amdhsa_user_sgpr_dispatch_ptr 0
		.amdhsa_user_sgpr_queue_ptr 0
		.amdhsa_user_sgpr_kernarg_segment_ptr 1
		.amdhsa_user_sgpr_dispatch_id 0
		.amdhsa_user_sgpr_flat_scratch_init 0
		.amdhsa_user_sgpr_private_segment_size 0
		.amdhsa_uses_dynamic_stack 0
		.amdhsa_system_sgpr_private_segment_wavefront_offset 0
		.amdhsa_system_sgpr_workgroup_id_x 1
		.amdhsa_system_sgpr_workgroup_id_y 0
		.amdhsa_system_sgpr_workgroup_id_z 0
		.amdhsa_system_sgpr_workgroup_info 0
		.amdhsa_system_vgpr_workitem_id 0
		.amdhsa_next_free_vgpr 127
		.amdhsa_next_free_sgpr 22
		.amdhsa_reserve_vcc 1
		.amdhsa_reserve_flat_scratch 0
		.amdhsa_float_round_mode_32 0
		.amdhsa_float_round_mode_16_64 0
		.amdhsa_float_denorm_mode_32 3
		.amdhsa_float_denorm_mode_16_64 3
		.amdhsa_dx10_clamp 1
		.amdhsa_ieee_mode 1
		.amdhsa_fp16_overflow 0
		.amdhsa_exception_fp_ieee_invalid_op 0
		.amdhsa_exception_fp_denorm_src 0
		.amdhsa_exception_fp_ieee_div_zero 0
		.amdhsa_exception_fp_ieee_overflow 0
		.amdhsa_exception_fp_ieee_underflow 0
		.amdhsa_exception_fp_ieee_inexact 0
		.amdhsa_exception_int_div_zero 0
	.end_amdhsa_kernel
	.text
.Lfunc_end0:
	.size	fft_rtc_back_len1092_factors_2_2_13_7_3_wgs_52_tpt_52_halfLds_sp_ip_CI_unitstride_sbrr_C2R_dirReg, .Lfunc_end0-fft_rtc_back_len1092_factors_2_2_13_7_3_wgs_52_tpt_52_halfLds_sp_ip_CI_unitstride_sbrr_C2R_dirReg
                                        ; -- End function
	.section	.AMDGPU.csdata,"",@progbits
; Kernel info:
; codeLenInByte = 15524
; NumSgprs: 26
; NumVgprs: 127
; ScratchSize: 0
; MemoryBound: 0
; FloatMode: 240
; IeeeMode: 1
; LDSByteSize: 0 bytes/workgroup (compile time only)
; SGPRBlocks: 3
; VGPRBlocks: 31
; NumSGPRsForWavesPerEU: 26
; NumVGPRsForWavesPerEU: 127
; Occupancy: 2
; WaveLimiterHint : 1
; COMPUTE_PGM_RSRC2:SCRATCH_EN: 0
; COMPUTE_PGM_RSRC2:USER_SGPR: 6
; COMPUTE_PGM_RSRC2:TRAP_HANDLER: 0
; COMPUTE_PGM_RSRC2:TGID_X_EN: 1
; COMPUTE_PGM_RSRC2:TGID_Y_EN: 0
; COMPUTE_PGM_RSRC2:TGID_Z_EN: 0
; COMPUTE_PGM_RSRC2:TIDIG_COMP_CNT: 0
	.type	__hip_cuid_97feeb9ab0336136,@object ; @__hip_cuid_97feeb9ab0336136
	.section	.bss,"aw",@nobits
	.globl	__hip_cuid_97feeb9ab0336136
__hip_cuid_97feeb9ab0336136:
	.byte	0                               ; 0x0
	.size	__hip_cuid_97feeb9ab0336136, 1

	.ident	"AMD clang version 19.0.0git (https://github.com/RadeonOpenCompute/llvm-project roc-6.4.0 25133 c7fe45cf4b819c5991fe208aaa96edf142730f1d)"
	.section	".note.GNU-stack","",@progbits
	.addrsig
	.addrsig_sym __hip_cuid_97feeb9ab0336136
	.amdgpu_metadata
---
amdhsa.kernels:
  - .args:
      - .actual_access:  read_only
        .address_space:  global
        .offset:         0
        .size:           8
        .value_kind:     global_buffer
      - .offset:         8
        .size:           8
        .value_kind:     by_value
      - .actual_access:  read_only
        .address_space:  global
        .offset:         16
        .size:           8
        .value_kind:     global_buffer
      - .actual_access:  read_only
        .address_space:  global
        .offset:         24
        .size:           8
        .value_kind:     global_buffer
      - .offset:         32
        .size:           8
        .value_kind:     by_value
      - .actual_access:  read_only
        .address_space:  global
        .offset:         40
        .size:           8
        .value_kind:     global_buffer
      - .actual_access:  read_only
        .address_space:  global
        .offset:         48
        .size:           8
        .value_kind:     global_buffer
      - .offset:         56
        .size:           4
        .value_kind:     by_value
      - .actual_access:  read_only
        .address_space:  global
        .offset:         64
        .size:           8
        .value_kind:     global_buffer
      - .actual_access:  read_only
        .address_space:  global
        .offset:         72
        .size:           8
        .value_kind:     global_buffer
      - .address_space:  global
        .offset:         80
        .size:           8
        .value_kind:     global_buffer
    .group_segment_fixed_size: 0
    .kernarg_segment_align: 8
    .kernarg_segment_size: 88
    .language:       OpenCL C
    .language_version:
      - 2
      - 0
    .max_flat_workgroup_size: 52
    .name:           fft_rtc_back_len1092_factors_2_2_13_7_3_wgs_52_tpt_52_halfLds_sp_ip_CI_unitstride_sbrr_C2R_dirReg
    .private_segment_fixed_size: 0
    .sgpr_count:     26
    .sgpr_spill_count: 0
    .symbol:         fft_rtc_back_len1092_factors_2_2_13_7_3_wgs_52_tpt_52_halfLds_sp_ip_CI_unitstride_sbrr_C2R_dirReg.kd
    .uniform_work_group_size: 1
    .uses_dynamic_stack: false
    .vgpr_count:     127
    .vgpr_spill_count: 0
    .wavefront_size: 64
amdhsa.target:   amdgcn-amd-amdhsa--gfx906
amdhsa.version:
  - 1
  - 2
...

	.end_amdgpu_metadata
